;; amdgpu-corpus repo=pytorch/pytorch kind=compiled arch=gfx950 opt=O3
	.amdgcn_target "amdgcn-amd-amdhsa--gfx950"
	.amdhsa_code_object_version 6
	.section	.text._ZN2at6native12_GLOBAL__N_137upsample_bicubic2d_out_frame_parallelIddEEviT0_S3_bN5torch10headeronly6detail27GenericPackedTensorAccessorINS6_14TensorAccessorIN3c108ArrayRefIlEEKT_Lm3ENS5_16DefaultPtrTraitsElEENS_6detail16IndexBoundsCheckILm4ElEESD_Lm4ESE_lEENS7_INS8_ISB_SC_Lm3ESE_lEESI_SC_Lm4ESE_lEE,"axG",@progbits,_ZN2at6native12_GLOBAL__N_137upsample_bicubic2d_out_frame_parallelIddEEviT0_S3_bN5torch10headeronly6detail27GenericPackedTensorAccessorINS6_14TensorAccessorIN3c108ArrayRefIlEEKT_Lm3ENS5_16DefaultPtrTraitsElEENS_6detail16IndexBoundsCheckILm4ElEESD_Lm4ESE_lEENS7_INS8_ISB_SC_Lm3ESE_lEESI_SC_Lm4ESE_lEE,comdat
	.globl	_ZN2at6native12_GLOBAL__N_137upsample_bicubic2d_out_frame_parallelIddEEviT0_S3_bN5torch10headeronly6detail27GenericPackedTensorAccessorINS6_14TensorAccessorIN3c108ArrayRefIlEEKT_Lm3ENS5_16DefaultPtrTraitsElEENS_6detail16IndexBoundsCheckILm4ElEESD_Lm4ESE_lEENS7_INS8_ISB_SC_Lm3ESE_lEESI_SC_Lm4ESE_lEE ; -- Begin function _ZN2at6native12_GLOBAL__N_137upsample_bicubic2d_out_frame_parallelIddEEviT0_S3_bN5torch10headeronly6detail27GenericPackedTensorAccessorINS6_14TensorAccessorIN3c108ArrayRefIlEEKT_Lm3ENS5_16DefaultPtrTraitsElEENS_6detail16IndexBoundsCheckILm4ElEESD_Lm4ESE_lEENS7_INS8_ISB_SC_Lm3ESE_lEESI_SC_Lm4ESE_lEE
	.p2align	8
	.type	_ZN2at6native12_GLOBAL__N_137upsample_bicubic2d_out_frame_parallelIddEEviT0_S3_bN5torch10headeronly6detail27GenericPackedTensorAccessorINS6_14TensorAccessorIN3c108ArrayRefIlEEKT_Lm3ENS5_16DefaultPtrTraitsElEENS_6detail16IndexBoundsCheckILm4ElEESD_Lm4ESE_lEENS7_INS8_ISB_SC_Lm3ESE_lEESI_SC_Lm4ESE_lEE,@function
_ZN2at6native12_GLOBAL__N_137upsample_bicubic2d_out_frame_parallelIddEEviT0_S3_bN5torch10headeronly6detail27GenericPackedTensorAccessorINS6_14TensorAccessorIN3c108ArrayRefIlEEKT_Lm3ENS5_16DefaultPtrTraitsElEENS_6detail16IndexBoundsCheckILm4ElEESD_Lm4ESE_lEENS7_INS8_ISB_SC_Lm3ESE_lEESI_SC_Lm4ESE_lEE: ; @_ZN2at6native12_GLOBAL__N_137upsample_bicubic2d_out_frame_parallelIddEEviT0_S3_bN5torch10headeronly6detail27GenericPackedTensorAccessorINS6_14TensorAccessorIN3c108ArrayRefIlEEKT_Lm3ENS5_16DefaultPtrTraitsElEENS_6detail16IndexBoundsCheckILm4ElEESD_Lm4ESE_lEENS7_INS8_ISB_SC_Lm3ESE_lEESI_SC_Lm4ESE_lEE
; %bb.0:
	s_load_dword s4, s[0:1], 0xbc
	s_load_dword s5, s[0:1], 0x0
	s_add_u32 s28, s0, 0xb0
	s_addc_u32 s29, s1, 0
	s_waitcnt lgkmcnt(0)
	s_and_b32 s4, s4, 0xffff
	s_mul_i32 s2, s2, s4
	v_add_u32_e32 v0, s2, v0
	v_cmp_gt_i32_e32 vcc, s5, v0
	s_and_saveexec_b64 s[4:5], vcc
	s_cbranch_execz .LBB0_10
; %bb.1:
	s_load_dwordx4 s[4:7], s[0:1], 0x80
	v_sub_u32_e32 v2, 0, v0
	v_max_i32_e32 v2, v0, v2
	s_load_dword s9, s[0:1], 0x28
	s_load_dwordx4 s[24:27], s[0:1], 0x30
	s_load_dword s8, s[0:1], 0x40
	s_waitcnt lgkmcnt(0)
	s_abs_i32 s2, s6
	v_cvt_f32_u32_e32 v1, s2
	s_sub_i32 s5, 0, s2
	v_xor_b32_e32 v3, s6, v0
	v_ashrrev_i32_e32 v3, 31, v3
	v_rcp_iflag_f32_e32 v1, v1
	s_cmp_lg_u32 s26, s4
	v_mul_f32_e32 v1, 0x4f7ffffe, v1
	v_cvt_u32_f32_e32 v1, v1
	v_mul_lo_u32 v4, s5, v1
	v_mul_hi_u32 v4, v1, v4
	v_add_u32_e32 v1, v1, v4
	v_mul_hi_u32 v1, v2, v1
	v_mul_lo_u32 v4, v1, s2
	v_sub_u32_e32 v2, v2, v4
	v_add_u32_e32 v5, 1, v1
	v_cmp_le_u32_e32 vcc, s2, v2
	v_subrev_u32_e32 v4, s2, v2
	s_cselect_b64 s[4:5], -1, 0
	v_cndmask_b32_e32 v1, v1, v5, vcc
	v_cndmask_b32_e32 v2, v2, v4, vcc
	v_add_u32_e32 v4, 1, v1
	v_cmp_le_u32_e32 vcc, s2, v2
	s_cmp_lg_u32 s8, s6
	s_mul_i32 s2, s24, s9
	v_cndmask_b32_e32 v1, v1, v4, vcc
	v_xor_b32_e32 v1, v1, v3
	v_sub_u32_e32 v45, v1, v3
	v_mul_lo_u32 v1, v45, s6
	s_cselect_b64 s[6:7], -1, 0
	s_or_b64 s[4:5], s[6:7], s[4:5]
	s_cmp_lt_i32 s3, s2
	s_cselect_b64 s[10:11], -1, 0
	v_sub_u32_e32 v44, v0, v1
	v_cndmask_b32_e64 v0, 0, 1, s[10:11]
	s_mov_b64 s[6:7], -1
	s_and_b64 vcc, exec, s[4:5]
	v_cmp_ne_u32_e64 s[4:5], 1, v0
	s_cbranch_vccz .LBB0_6
; %bb.2:
	s_and_b64 vcc, exec, s[4:5]
	s_cbranch_vccnz .LBB0_5
; %bb.3:
	s_load_dword s6, s[0:1], 0x18
	s_load_dwordx4 s[12:15], s[0:1], 0x8
	v_cvt_f64_i32_e32 v[0:1], v45
	v_add_f64 v[2:3], v[0:1], 0.5
	v_mov_b32_e32 v18, 0
	s_waitcnt lgkmcnt(0)
	s_bitcmp1_b32 s6, 0
	v_mul_f64 v[0:1], s[12:13], v[0:1]
	v_fma_f64 v[2:3], s[12:13], v[2:3], -0.5
	s_cselect_b64 vcc, -1, 0
	v_cndmask_b32_e32 v1, v3, v1, vcc
	v_cndmask_b32_e32 v0, v2, v0, vcc
	v_cvt_f32_f64_e32 v2, v[0:1]
	v_floor_f32_e32 v2, v2
	v_cvt_i32_f32_e32 v36, v2
	v_cvt_f64_i32_e32 v[2:3], v44
	v_mul_f64 v[4:5], s[14:15], v[2:3]
	v_add_f64 v[2:3], v[2:3], 0.5
	v_fma_f64 v[2:3], s[14:15], v[2:3], -0.5
	v_cndmask_b32_e32 v3, v3, v5, vcc
	v_cndmask_b32_e32 v2, v2, v4, vcc
	v_cvt_f32_f64_e32 v4, v[2:3]
	v_floor_f32_e32 v4, v4
	v_cvt_i32_f32_e32 v8, v4
	v_cvt_f64_i32_e32 v[4:5], v36
	s_add_i32 s18, s8, -1
	s_load_dwordx8 s[8:15], s[0:1], 0x48
	v_add_f64 v[14:15], v[0:1], -v[4:5]
	v_cvt_f64_i32_e32 v[0:1], v8
	v_add_f64 v[6:7], v[2:3], -v[0:1]
	v_add_u32_e32 v0, -1, v8
	v_min_i32_e32 v0, s18, v0
	v_max_i32_e32 v1, 0, v0
	s_waitcnt lgkmcnt(0)
	v_mad_u64_u32 v[28:29], s[16:17], s14, v1, 0
	v_mov_b32_e32 v0, v29
	v_mad_u64_u32 v[0:1], s[16:17], s15, v1, v[0:1]
	v_mov_b32_e32 v29, v0
	v_min_i32_e32 v0, s18, v8
	v_max_i32_e32 v1, 0, v0
	v_mad_u64_u32 v[30:31], s[16:17], s14, v1, 0
	v_mov_b32_e32 v0, v31
	v_mad_u64_u32 v[0:1], s[16:17], s15, v1, v[0:1]
	v_mov_b32_e32 v31, v0
	v_add_u32_e32 v0, 1, v8
	v_min_i32_e32 v0, s18, v0
	v_max_i32_e32 v1, 0, v0
	v_mad_u64_u32 v[32:33], s[16:17], s14, v1, 0
	v_mov_b32_e32 v0, v33
	v_mad_u64_u32 v[0:1], s[16:17], s15, v1, v[0:1]
	v_mov_b32_e32 v33, v0
	v_add_u32_e32 v0, 2, v8
	v_min_i32_e32 v0, s18, v0
	v_max_i32_e32 v1, 0, v0
	v_mad_u64_u32 v[34:35], s[16:17], s14, v1, 0
	v_mov_b32_e32 v0, v35
	v_mad_u64_u32 v[0:1], s[14:15], s15, v1, v[0:1]
	v_mov_b32_e32 v35, v0
	v_mov_b32_e32 v0, 0
	v_add_f64 v[2:3], v[6:7], 1.0
	v_mov_b32_e32 v1, 0x400e0000
	v_fmac_f64_e32 v[0:1], 0xbfe80000, v[2:3]
	v_mov_b32_e32 v19, 0xc0180000
	v_fma_f64 v[4:5], v[2:3], v[0:1], v[18:19]
	v_mov_b32_e32 v0, 0
	v_mov_b32_e32 v1, 0x40080000
	v_fma_f64 v[2:3], v[2:3], v[4:5], v[0:1]
	v_mov_b32_e32 v4, 0
	v_mov_b32_e32 v5, 0xc0020000
	v_fmac_f64_e32 v[4:5], 0x3ff40000, v[6:7]
	v_mul_f64 v[4:5], v[6:7], v[4:5]
	v_fma_f64 v[4:5], v[6:7], v[4:5], 1.0
	v_add_f64 v[8:9], -v[6:7], 1.0
	v_mov_b32_e32 v6, 0
	v_mov_b32_e32 v7, 0xc0020000
	v_fmac_f64_e32 v[6:7], 0x3ff40000, v[8:9]
	v_mul_f64 v[6:7], v[8:9], v[6:7]
	v_mov_b32_e32 v10, 0
	v_fma_f64 v[6:7], v[8:9], v[6:7], 1.0
	v_add_f64 v[8:9], v[8:9], 1.0
	v_mov_b32_e32 v11, 0x400e0000
	v_fmac_f64_e32 v[10:11], 0xbfe80000, v[8:9]
	v_fma_f64 v[10:11], v[8:9], v[10:11], v[18:19]
	v_mov_b32_e32 v12, 0
	v_fma_f64 v[8:9], v[8:9], v[10:11], v[0:1]
	v_add_f64 v[10:11], v[14:15], 1.0
	v_mov_b32_e32 v13, 0x400e0000
	v_fmac_f64_e32 v[12:13], 0xbfe80000, v[10:11]
	v_fma_f64 v[12:13], v[10:11], v[12:13], v[18:19]
	v_fma_f64 v[10:11], v[10:11], v[12:13], v[0:1]
	v_mov_b32_e32 v12, 0
	v_mov_b32_e32 v20, 0
	;; [unrolled: 1-line block ×4, first 2 shown]
	v_fmac_f64_e32 v[12:13], 0x3ff40000, v[14:15]
	v_add_f64 v[22:23], -v[14:15], 1.0
	s_load_dwordx8 s[16:23], s[0:1], 0x90
	v_mov_b32_e32 v16, 0
	v_mul_f64 v[12:13], v[14:15], v[12:13]
	v_fmac_f64_e32 v[20:21], 0x3ff40000, v[22:23]
	v_mov_b32_e32 v17, 0x400e0000
	v_fma_f64 v[12:13], v[14:15], v[12:13], 1.0
	v_mul_f64 v[14:15], v[22:23], v[20:21]
	v_add_f64 v[20:21], v[22:23], 1.0
	v_fmac_f64_e32 v[16:17], 0xbfe80000, v[20:21]
	v_fmac_f64_e32 v[18:19], v[20:21], v[16:17]
	v_ashrrev_i32_e32 v16, 31, v45
	v_fmac_f64_e32 v[0:1], v[20:21], v[18:19]
	s_waitcnt lgkmcnt(0)
	v_mul_lo_u32 v18, s21, v45
	v_mul_lo_u32 v19, s20, v16
	v_mad_u64_u32 v[16:17], s[14:15], s20, v45, 0
	v_add3_u32 v17, v17, v19, v18
	v_ashrrev_i32_e32 v18, 31, v44
	v_add_u32_e32 v24, -1, v36
	s_add_i32 s25, s26, -1
	v_mul_lo_u32 v20, s23, v44
	v_mul_lo_u32 v21, s22, v18
	v_mad_u64_u32 v[18:19], s[14:15], s22, v44, 0
	v_add3_u32 v19, v19, v21, v20
	v_min_i32_e32 v20, s25, v24
	v_fma_f64 v[14:15], v[22:23], v[14:15], 1.0
	v_max_i32_e32 v23, 0, v20
	v_mad_u64_u32 v[20:21], s[20:21], s12, v23, 0
	v_mov_b32_e32 v22, v21
	v_mad_u64_u32 v[22:23], s[20:21], s13, v23, v[22:23]
	v_mov_b32_e32 v21, v22
	v_min_i32_e32 v22, s25, v36
	v_max_i32_e32 v25, 0, v22
	v_mad_u64_u32 v[22:23], s[20:21], s12, v25, 0
	v_mov_b32_e32 v24, v23
	v_mad_u64_u32 v[24:25], s[20:21], s13, v25, v[24:25]
	v_mov_b32_e32 v23, v24
	v_add_u32_e32 v24, 1, v36
	v_min_i32_e32 v24, s25, v24
	v_max_i32_e32 v27, 0, v24
	v_mad_u64_u32 v[24:25], s[20:21], s12, v27, 0
	v_mov_b32_e32 v26, v25
	v_mad_u64_u32 v[26:27], s[20:21], s13, v27, v[26:27]
	s_abs_i32 s15, s24
	v_mov_b32_e32 v25, v26
	v_add_u32_e32 v26, 2, v36
	v_cvt_f32_u32_e32 v36, s15
	v_min_i32_e32 v26, s25, v26
	v_max_i32_e32 v37, 0, v26
	v_mad_u64_u32 v[26:27], s[20:21], s12, v37, 0
	v_rcp_iflag_f32_e32 v38, v36
	v_mov_b32_e32 v36, v27
	v_mad_u64_u32 v[36:37], s[12:13], s13, v37, v[36:37]
	v_mul_f32_e32 v27, 0x4f7ffffe, v38
	v_cvt_u32_f32_e32 v37, v27
	s_load_dwordx2 s[6:7], s[0:1], 0x20
	s_load_dwordx2 s[26:27], s[0:1], 0x68
	s_load_dword s14, s[28:29], 0x8
	s_sub_i32 s13, 0, s15
	v_readfirstlane_b32 s20, v37
	s_mul_i32 s13, s13, s20
	s_mul_hi_u32 s13, s20, s13
	v_mov_b32_e32 v27, v36
	s_ashr_i32 s12, s24, 31
	s_add_i32 s13, s20, s13
	s_sub_i32 s20, 0, s24
	v_lshlrev_b64 v[28:29], 3, v[28:29]
	v_lshlrev_b64 v[30:31], 3, v[30:31]
	;; [unrolled: 1-line block ×4, first 2 shown]
	s_mov_b32 s21, s3
.LBB0_4:                                ; =>This Inner Loop Header: Depth=1
	s_abs_i32 s23, s21
	s_mul_hi_u32 s25, s23, s13
	s_mul_i32 s30, s25, s15
	s_ashr_i32 s22, s21, 31
	s_sub_i32 s23, s23, s30
	s_xor_b32 s22, s22, s12
	s_add_i32 s31, s25, 1
	s_sub_i32 s30, s23, s15
	s_cmp_ge_u32 s23, s15
	s_cselect_b32 s25, s31, s25
	s_cselect_b32 s23, s30, s23
	s_add_i32 s30, s25, 1
	s_cmp_ge_u32 s23, s15
	s_cselect_b32 s23, s30, s25
	s_xor_b32 s23, s23, s22
	s_sub_i32 s22, s23, s22
	s_ashr_i32 s23, s22, 31
	s_mul_hi_u32 s31, s8, s22
	s_mul_i32 s34, s8, s23
	s_mul_i32 s33, s9, s22
	s_add_i32 s31, s31, s34
	s_mul_i32 s25, s20, s22
	s_mul_i32 s30, s8, s22
	s_add_i32 s31, s31, s33
	s_add_i32 s25, s21, s25
	s_lshl_b64 s[30:31], s[30:31], 3
	s_waitcnt lgkmcnt(0)
	s_add_u32 s33, s6, s30
	s_addc_u32 s37, s7, s31
	s_ashr_i32 s38, s25, 31
	s_mul_hi_u32 s35, s10, s25
	s_mul_i32 s30, s10, s38
	s_mul_i32 s36, s11, s25
	s_add_i32 s30, s35, s30
	s_mul_i32 s34, s10, s25
	s_add_i32 s35, s30, s36
	s_lshl_b64 s[30:31], s[34:35], 3
	s_add_u32 s30, s33, s30
	s_addc_u32 s31, s37, s31
	v_lshl_add_u64 v[36:37], v[20:21], 3, s[30:31]
	v_lshl_add_u64 v[48:49], v[36:37], 0, v[30:31]
	v_lshl_add_u64 v[40:41], v[36:37], 0, v[28:29]
	global_load_dwordx2 v[54:55], v[48:49], off
	global_load_dwordx2 v[56:57], v[40:41], off
	v_lshl_add_u64 v[38:39], v[22:23], 3, s[30:31]
	v_lshl_add_u64 v[52:53], v[38:39], 0, v[30:31]
	;; [unrolled: 1-line block ×6, first 2 shown]
	s_mul_hi_u32 s31, s16, s22
	s_mul_i32 s23, s16, s23
	s_mul_i32 s33, s17, s22
	s_add_i32 s23, s31, s23
	s_mul_i32 s22, s16, s22
	s_add_i32 s23, s23, s33
	s_lshl_b64 s[22:23], s[22:23], 3
	s_mul_hi_u32 s34, s18, s25
	s_mul_i32 s35, s19, s25
	s_mul_i32 s30, s18, s25
	;; [unrolled: 1-line block ×3, first 2 shown]
	s_add_u32 s33, s26, s22
	s_addc_u32 s36, s27, s23
	s_add_i32 s22, s34, s25
	s_add_i32 s31, s22, s35
	s_lshl_b64 s[22:23], s[30:31], 3
	s_add_u32 s22, s33, s22
	s_addc_u32 s23, s36, s23
	s_add_i32 s21, s21, s14
	s_cmp_lt_i32 s21, s2
	s_waitcnt vmcnt(1)
	v_mul_f64 v[40:41], v[4:5], v[54:55]
	s_waitcnt vmcnt(0)
	v_fmac_f64_e32 v[40:41], v[2:3], v[56:57]
	global_load_dwordx2 v[54:55], v[52:53], off
	global_load_dwordx2 v[56:57], v[50:51], off
	v_lshl_add_u64 v[52:53], v[42:43], 0, v[30:31]
	s_waitcnt vmcnt(1)
	v_mul_f64 v[50:51], v[4:5], v[54:55]
	s_waitcnt vmcnt(0)
	v_fmac_f64_e32 v[50:51], v[2:3], v[56:57]
	global_load_dwordx2 v[54:55], v[52:53], off
	global_load_dwordx2 v[56:57], v[48:49], off
	v_lshl_add_u64 v[52:53], v[46:47], 0, v[30:31]
	global_load_dwordx2 v[52:53], v[52:53], off
	s_waitcnt vmcnt(2)
	v_mul_f64 v[48:49], v[4:5], v[54:55]
	v_lshl_add_u64 v[54:55], v[46:47], 0, v[28:29]
	global_load_dwordx2 v[54:55], v[54:55], off
	s_waitcnt vmcnt(1)
	v_mul_f64 v[52:53], v[4:5], v[52:53]
	v_fmac_f64_e32 v[48:49], v[2:3], v[56:57]
	s_waitcnt vmcnt(0)
	v_fmac_f64_e32 v[52:53], v[2:3], v[54:55]
	v_lshl_add_u64 v[54:55], v[36:37], 0, v[32:33]
	global_load_dwordx2 v[54:55], v[54:55], off
	v_lshl_add_u64 v[36:37], v[36:37], 0, v[34:35]
	s_waitcnt vmcnt(0)
	v_fmac_f64_e32 v[40:41], v[6:7], v[54:55]
	v_lshl_add_u64 v[54:55], v[38:39], 0, v[32:33]
	global_load_dwordx2 v[54:55], v[54:55], off
	v_lshl_add_u64 v[38:39], v[38:39], 0, v[34:35]
	;; [unrolled: 5-line block ×4, first 2 shown]
	s_waitcnt vmcnt(0)
	v_fmac_f64_e32 v[52:53], v[6:7], v[54:55]
	global_load_dwordx2 v[54:55], v[36:37], off
	global_load_dwordx2 v[56:57], v[38:39], off
	;; [unrolled: 1-line block ×4, first 2 shown]
	v_lshl_add_u64 v[36:37], v[16:17], 3, s[22:23]
	v_lshl_add_u64 v[36:37], v[18:19], 3, v[36:37]
	s_waitcnt vmcnt(3)
	v_fmac_f64_e32 v[40:41], v[8:9], v[54:55]
	s_waitcnt vmcnt(2)
	v_fmac_f64_e32 v[50:51], v[8:9], v[56:57]
	v_mul_f64 v[38:39], v[10:11], v[40:41]
	s_waitcnt vmcnt(1)
	v_fmac_f64_e32 v[48:49], v[8:9], v[58:59]
	v_fmac_f64_e32 v[38:39], v[12:13], v[50:51]
	s_waitcnt vmcnt(0)
	v_fmac_f64_e32 v[52:53], v[8:9], v[60:61]
	v_fmac_f64_e32 v[38:39], v[14:15], v[48:49]
	v_fmac_f64_e32 v[38:39], v[0:1], v[52:53]
	global_store_dwordx2 v[36:37], v[38:39], off
	s_cbranch_scc1 .LBB0_4
.LBB0_5:
	s_mov_b64 s[6:7], 0
.LBB0_6:
	s_andn2_b64 vcc, exec, s[6:7]
	s_cbranch_vccnz .LBB0_10
; %bb.7:
	s_and_b64 vcc, exec, s[4:5]
	s_cbranch_vccnz .LBB0_10
; %bb.8:
	s_load_dwordx8 s[4:11], s[0:1], 0x48
	s_load_dwordx2 s[20:21], s[0:1], 0x20
	s_load_dwordx2 s[22:23], s[0:1], 0x68
	s_load_dwordx8 s[12:19], s[0:1], 0x90
	v_ashrrev_i32_e32 v4, 31, v45
	s_waitcnt lgkmcnt(0)
	v_mul_lo_u32 v2, s9, v45
	v_mul_lo_u32 v3, s8, v4
	v_mad_u64_u32 v[0:1], s[8:9], s8, v45, 0
	v_ashrrev_i32_e32 v6, 31, v44
	v_add3_u32 v1, v1, v3, v2
	v_mul_lo_u32 v5, s11, v44
	v_mul_lo_u32 v7, s10, v6
	v_mad_u64_u32 v[2:3], s[0:1], s10, v44, 0
	v_add3_u32 v3, v3, v7, v5
	v_mul_lo_u32 v8, s16, v4
	v_mad_u64_u32 v[4:5], s[0:1], s16, v45, 0
	s_abs_i32 s0, s24
	s_nop 0
	v_cvt_f32_u32_e32 v9, s0
	v_mul_lo_u32 v7, s17, v45
	v_add3_u32 v5, v5, v8, v7
	v_mul_lo_u32 v8, s19, v44
	v_rcp_iflag_f32_e32 v9, v9
	v_mul_lo_u32 v10, s18, v6
	v_mad_u64_u32 v[6:7], s[8:9], s18, v44, 0
	v_add3_u32 v7, v7, v10, v8
	v_mul_f32_e32 v8, 0x4f7ffffe, v9
	v_cvt_u32_f32_e32 v8, v8
	s_load_dword s1, s[28:29], 0x8
	s_sub_i32 s9, 0, s0
	s_ashr_i32 s8, s24, 31
	v_readfirstlane_b32 s10, v8
	s_mul_i32 s9, s9, s10
	s_mul_hi_u32 s9, s10, s9
	s_add_i32 s9, s10, s9
	s_sub_i32 s10, 0, s24
.LBB0_9:                                ; =>This Inner Loop Header: Depth=1
	s_abs_i32 s16, s3
	s_mul_hi_u32 s17, s16, s9
	s_mul_i32 s18, s17, s0
	s_ashr_i32 s11, s3, 31
	s_sub_i32 s16, s16, s18
	s_xor_b32 s11, s11, s8
	s_add_i32 s19, s17, 1
	s_sub_i32 s18, s16, s0
	s_cmp_ge_u32 s16, s0
	s_cselect_b32 s17, s19, s17
	s_cselect_b32 s16, s18, s16
	s_add_i32 s18, s17, 1
	s_cmp_ge_u32 s16, s0
	s_cselect_b32 s16, s18, s17
	s_xor_b32 s16, s16, s11
	s_sub_i32 s11, s16, s11
	s_mul_i32 s17, s10, s11
	s_ashr_i32 s24, s11, 31
	s_mul_hi_u32 s18, s4, s11
	s_add_i32 s25, s3, s17
	s_mul_i32 s17, s4, s24
	s_mul_i32 s19, s5, s11
	s_add_i32 s17, s18, s17
	s_mul_i32 s16, s4, s11
	s_add_i32 s17, s17, s19
	s_lshl_b64 s[16:17], s[16:17], 3
	s_add_u32 s28, s20, s16
	s_addc_u32 s29, s21, s17
	s_ashr_i32 s30, s25, 31
	s_mul_hi_u32 s26, s6, s25
	s_mul_i32 s16, s6, s30
	s_mul_i32 s27, s7, s25
	s_add_i32 s16, s26, s16
	s_mul_i32 s18, s6, s25
	s_add_i32 s19, s16, s27
	s_lshl_b64 s[16:17], s[18:19], 3
	s_add_u32 s16, s28, s16
	s_addc_u32 s17, s29, s17
	v_lshl_add_u64 v[8:9], v[0:1], 3, s[16:17]
	v_lshl_add_u64 v[8:9], v[2:3], 3, v[8:9]
	global_load_dwordx2 v[8:9], v[8:9], off
	s_mul_hi_u32 s17, s12, s11
	s_mul_i32 s19, s13, s11
	s_mul_i32 s16, s12, s11
	;; [unrolled: 1-line block ×3, first 2 shown]
	s_add_i32 s11, s17, s11
	s_add_i32 s17, s11, s19
	s_lshl_b64 s[16:17], s[16:17], 3
	s_mul_hi_u32 s24, s14, s25
	s_mul_i32 s26, s15, s25
	s_mul_i32 s18, s14, s25
	;; [unrolled: 1-line block ×3, first 2 shown]
	s_add_u32 s11, s22, s16
	s_addc_u32 s27, s23, s17
	s_add_i32 s16, s24, s25
	s_add_i32 s19, s16, s26
	s_lshl_b64 s[16:17], s[18:19], 3
	s_add_u32 s16, s11, s16
	s_addc_u32 s17, s27, s17
	s_waitcnt lgkmcnt(0)
	s_add_i32 s3, s3, s1
	v_lshl_add_u64 v[10:11], v[4:5], 3, s[16:17]
	s_cmp_ge_i32 s3, s2
	v_lshl_add_u64 v[10:11], v[6:7], 3, v[10:11]
	s_waitcnt vmcnt(0)
	global_store_dwordx2 v[10:11], v[8:9], off
	s_cbranch_scc0 .LBB0_9
.LBB0_10:
	s_endpgm
	.section	.rodata,"a",@progbits
	.p2align	6, 0x0
	.amdhsa_kernel _ZN2at6native12_GLOBAL__N_137upsample_bicubic2d_out_frame_parallelIddEEviT0_S3_bN5torch10headeronly6detail27GenericPackedTensorAccessorINS6_14TensorAccessorIN3c108ArrayRefIlEEKT_Lm3ENS5_16DefaultPtrTraitsElEENS_6detail16IndexBoundsCheckILm4ElEESD_Lm4ESE_lEENS7_INS8_ISB_SC_Lm3ESE_lEESI_SC_Lm4ESE_lEE
		.amdhsa_group_segment_fixed_size 0
		.amdhsa_private_segment_fixed_size 0
		.amdhsa_kernarg_size 432
		.amdhsa_user_sgpr_count 2
		.amdhsa_user_sgpr_dispatch_ptr 0
		.amdhsa_user_sgpr_queue_ptr 0
		.amdhsa_user_sgpr_kernarg_segment_ptr 1
		.amdhsa_user_sgpr_dispatch_id 0
		.amdhsa_user_sgpr_kernarg_preload_length 0
		.amdhsa_user_sgpr_kernarg_preload_offset 0
		.amdhsa_user_sgpr_private_segment_size 0
		.amdhsa_uses_dynamic_stack 0
		.amdhsa_enable_private_segment 0
		.amdhsa_system_sgpr_workgroup_id_x 1
		.amdhsa_system_sgpr_workgroup_id_y 0
		.amdhsa_system_sgpr_workgroup_id_z 1
		.amdhsa_system_sgpr_workgroup_info 0
		.amdhsa_system_vgpr_workitem_id 0
		.amdhsa_next_free_vgpr 62
		.amdhsa_next_free_sgpr 39
		.amdhsa_accum_offset 64
		.amdhsa_reserve_vcc 1
		.amdhsa_float_round_mode_32 0
		.amdhsa_float_round_mode_16_64 0
		.amdhsa_float_denorm_mode_32 3
		.amdhsa_float_denorm_mode_16_64 3
		.amdhsa_dx10_clamp 1
		.amdhsa_ieee_mode 1
		.amdhsa_fp16_overflow 0
		.amdhsa_tg_split 0
		.amdhsa_exception_fp_ieee_invalid_op 0
		.amdhsa_exception_fp_denorm_src 0
		.amdhsa_exception_fp_ieee_div_zero 0
		.amdhsa_exception_fp_ieee_overflow 0
		.amdhsa_exception_fp_ieee_underflow 0
		.amdhsa_exception_fp_ieee_inexact 0
		.amdhsa_exception_int_div_zero 0
	.end_amdhsa_kernel
	.section	.text._ZN2at6native12_GLOBAL__N_137upsample_bicubic2d_out_frame_parallelIddEEviT0_S3_bN5torch10headeronly6detail27GenericPackedTensorAccessorINS6_14TensorAccessorIN3c108ArrayRefIlEEKT_Lm3ENS5_16DefaultPtrTraitsElEENS_6detail16IndexBoundsCheckILm4ElEESD_Lm4ESE_lEENS7_INS8_ISB_SC_Lm3ESE_lEESI_SC_Lm4ESE_lEE,"axG",@progbits,_ZN2at6native12_GLOBAL__N_137upsample_bicubic2d_out_frame_parallelIddEEviT0_S3_bN5torch10headeronly6detail27GenericPackedTensorAccessorINS6_14TensorAccessorIN3c108ArrayRefIlEEKT_Lm3ENS5_16DefaultPtrTraitsElEENS_6detail16IndexBoundsCheckILm4ElEESD_Lm4ESE_lEENS7_INS8_ISB_SC_Lm3ESE_lEESI_SC_Lm4ESE_lEE,comdat
.Lfunc_end0:
	.size	_ZN2at6native12_GLOBAL__N_137upsample_bicubic2d_out_frame_parallelIddEEviT0_S3_bN5torch10headeronly6detail27GenericPackedTensorAccessorINS6_14TensorAccessorIN3c108ArrayRefIlEEKT_Lm3ENS5_16DefaultPtrTraitsElEENS_6detail16IndexBoundsCheckILm4ElEESD_Lm4ESE_lEENS7_INS8_ISB_SC_Lm3ESE_lEESI_SC_Lm4ESE_lEE, .Lfunc_end0-_ZN2at6native12_GLOBAL__N_137upsample_bicubic2d_out_frame_parallelIddEEviT0_S3_bN5torch10headeronly6detail27GenericPackedTensorAccessorINS6_14TensorAccessorIN3c108ArrayRefIlEEKT_Lm3ENS5_16DefaultPtrTraitsElEENS_6detail16IndexBoundsCheckILm4ElEESD_Lm4ESE_lEENS7_INS8_ISB_SC_Lm3ESE_lEESI_SC_Lm4ESE_lEE
                                        ; -- End function
	.set _ZN2at6native12_GLOBAL__N_137upsample_bicubic2d_out_frame_parallelIddEEviT0_S3_bN5torch10headeronly6detail27GenericPackedTensorAccessorINS6_14TensorAccessorIN3c108ArrayRefIlEEKT_Lm3ENS5_16DefaultPtrTraitsElEENS_6detail16IndexBoundsCheckILm4ElEESD_Lm4ESE_lEENS7_INS8_ISB_SC_Lm3ESE_lEESI_SC_Lm4ESE_lEE.num_vgpr, 62
	.set _ZN2at6native12_GLOBAL__N_137upsample_bicubic2d_out_frame_parallelIddEEviT0_S3_bN5torch10headeronly6detail27GenericPackedTensorAccessorINS6_14TensorAccessorIN3c108ArrayRefIlEEKT_Lm3ENS5_16DefaultPtrTraitsElEENS_6detail16IndexBoundsCheckILm4ElEESD_Lm4ESE_lEENS7_INS8_ISB_SC_Lm3ESE_lEESI_SC_Lm4ESE_lEE.num_agpr, 0
	.set _ZN2at6native12_GLOBAL__N_137upsample_bicubic2d_out_frame_parallelIddEEviT0_S3_bN5torch10headeronly6detail27GenericPackedTensorAccessorINS6_14TensorAccessorIN3c108ArrayRefIlEEKT_Lm3ENS5_16DefaultPtrTraitsElEENS_6detail16IndexBoundsCheckILm4ElEESD_Lm4ESE_lEENS7_INS8_ISB_SC_Lm3ESE_lEESI_SC_Lm4ESE_lEE.numbered_sgpr, 39
	.set _ZN2at6native12_GLOBAL__N_137upsample_bicubic2d_out_frame_parallelIddEEviT0_S3_bN5torch10headeronly6detail27GenericPackedTensorAccessorINS6_14TensorAccessorIN3c108ArrayRefIlEEKT_Lm3ENS5_16DefaultPtrTraitsElEENS_6detail16IndexBoundsCheckILm4ElEESD_Lm4ESE_lEENS7_INS8_ISB_SC_Lm3ESE_lEESI_SC_Lm4ESE_lEE.num_named_barrier, 0
	.set _ZN2at6native12_GLOBAL__N_137upsample_bicubic2d_out_frame_parallelIddEEviT0_S3_bN5torch10headeronly6detail27GenericPackedTensorAccessorINS6_14TensorAccessorIN3c108ArrayRefIlEEKT_Lm3ENS5_16DefaultPtrTraitsElEENS_6detail16IndexBoundsCheckILm4ElEESD_Lm4ESE_lEENS7_INS8_ISB_SC_Lm3ESE_lEESI_SC_Lm4ESE_lEE.private_seg_size, 0
	.set _ZN2at6native12_GLOBAL__N_137upsample_bicubic2d_out_frame_parallelIddEEviT0_S3_bN5torch10headeronly6detail27GenericPackedTensorAccessorINS6_14TensorAccessorIN3c108ArrayRefIlEEKT_Lm3ENS5_16DefaultPtrTraitsElEENS_6detail16IndexBoundsCheckILm4ElEESD_Lm4ESE_lEENS7_INS8_ISB_SC_Lm3ESE_lEESI_SC_Lm4ESE_lEE.uses_vcc, 1
	.set _ZN2at6native12_GLOBAL__N_137upsample_bicubic2d_out_frame_parallelIddEEviT0_S3_bN5torch10headeronly6detail27GenericPackedTensorAccessorINS6_14TensorAccessorIN3c108ArrayRefIlEEKT_Lm3ENS5_16DefaultPtrTraitsElEENS_6detail16IndexBoundsCheckILm4ElEESD_Lm4ESE_lEENS7_INS8_ISB_SC_Lm3ESE_lEESI_SC_Lm4ESE_lEE.uses_flat_scratch, 0
	.set _ZN2at6native12_GLOBAL__N_137upsample_bicubic2d_out_frame_parallelIddEEviT0_S3_bN5torch10headeronly6detail27GenericPackedTensorAccessorINS6_14TensorAccessorIN3c108ArrayRefIlEEKT_Lm3ENS5_16DefaultPtrTraitsElEENS_6detail16IndexBoundsCheckILm4ElEESD_Lm4ESE_lEENS7_INS8_ISB_SC_Lm3ESE_lEESI_SC_Lm4ESE_lEE.has_dyn_sized_stack, 0
	.set _ZN2at6native12_GLOBAL__N_137upsample_bicubic2d_out_frame_parallelIddEEviT0_S3_bN5torch10headeronly6detail27GenericPackedTensorAccessorINS6_14TensorAccessorIN3c108ArrayRefIlEEKT_Lm3ENS5_16DefaultPtrTraitsElEENS_6detail16IndexBoundsCheckILm4ElEESD_Lm4ESE_lEENS7_INS8_ISB_SC_Lm3ESE_lEESI_SC_Lm4ESE_lEE.has_recursion, 0
	.set _ZN2at6native12_GLOBAL__N_137upsample_bicubic2d_out_frame_parallelIddEEviT0_S3_bN5torch10headeronly6detail27GenericPackedTensorAccessorINS6_14TensorAccessorIN3c108ArrayRefIlEEKT_Lm3ENS5_16DefaultPtrTraitsElEENS_6detail16IndexBoundsCheckILm4ElEESD_Lm4ESE_lEENS7_INS8_ISB_SC_Lm3ESE_lEESI_SC_Lm4ESE_lEE.has_indirect_call, 0
	.section	.AMDGPU.csdata,"",@progbits
; Kernel info:
; codeLenInByte = 2560
; TotalNumSgprs: 45
; NumVgprs: 62
; NumAgprs: 0
; TotalNumVgprs: 62
; ScratchSize: 0
; MemoryBound: 0
; FloatMode: 240
; IeeeMode: 1
; LDSByteSize: 0 bytes/workgroup (compile time only)
; SGPRBlocks: 5
; VGPRBlocks: 7
; NumSGPRsForWavesPerEU: 45
; NumVGPRsForWavesPerEU: 62
; AccumOffset: 64
; Occupancy: 8
; WaveLimiterHint : 1
; COMPUTE_PGM_RSRC2:SCRATCH_EN: 0
; COMPUTE_PGM_RSRC2:USER_SGPR: 2
; COMPUTE_PGM_RSRC2:TRAP_HANDLER: 0
; COMPUTE_PGM_RSRC2:TGID_X_EN: 1
; COMPUTE_PGM_RSRC2:TGID_Y_EN: 0
; COMPUTE_PGM_RSRC2:TGID_Z_EN: 1
; COMPUTE_PGM_RSRC2:TIDIG_COMP_CNT: 0
; COMPUTE_PGM_RSRC3_GFX90A:ACCUM_OFFSET: 15
; COMPUTE_PGM_RSRC3_GFX90A:TG_SPLIT: 0
	.section	.text._ZN2at6native12_GLOBAL__N_128upsample_bicubic2d_out_frameIddEEviT0_S3_bN5torch10headeronly6detail27GenericPackedTensorAccessorINS6_14TensorAccessorIN3c108ArrayRefIlEEKT_Lm3ENS5_16DefaultPtrTraitsElEENS_6detail16IndexBoundsCheckILm4ElEESD_Lm4ESE_lEENS7_INS8_ISB_SC_Lm3ESE_lEESI_SC_Lm4ESE_lEE,"axG",@progbits,_ZN2at6native12_GLOBAL__N_128upsample_bicubic2d_out_frameIddEEviT0_S3_bN5torch10headeronly6detail27GenericPackedTensorAccessorINS6_14TensorAccessorIN3c108ArrayRefIlEEKT_Lm3ENS5_16DefaultPtrTraitsElEENS_6detail16IndexBoundsCheckILm4ElEESD_Lm4ESE_lEENS7_INS8_ISB_SC_Lm3ESE_lEESI_SC_Lm4ESE_lEE,comdat
	.globl	_ZN2at6native12_GLOBAL__N_128upsample_bicubic2d_out_frameIddEEviT0_S3_bN5torch10headeronly6detail27GenericPackedTensorAccessorINS6_14TensorAccessorIN3c108ArrayRefIlEEKT_Lm3ENS5_16DefaultPtrTraitsElEENS_6detail16IndexBoundsCheckILm4ElEESD_Lm4ESE_lEENS7_INS8_ISB_SC_Lm3ESE_lEESI_SC_Lm4ESE_lEE ; -- Begin function _ZN2at6native12_GLOBAL__N_128upsample_bicubic2d_out_frameIddEEviT0_S3_bN5torch10headeronly6detail27GenericPackedTensorAccessorINS6_14TensorAccessorIN3c108ArrayRefIlEEKT_Lm3ENS5_16DefaultPtrTraitsElEENS_6detail16IndexBoundsCheckILm4ElEESD_Lm4ESE_lEENS7_INS8_ISB_SC_Lm3ESE_lEESI_SC_Lm4ESE_lEE
	.p2align	8
	.type	_ZN2at6native12_GLOBAL__N_128upsample_bicubic2d_out_frameIddEEviT0_S3_bN5torch10headeronly6detail27GenericPackedTensorAccessorINS6_14TensorAccessorIN3c108ArrayRefIlEEKT_Lm3ENS5_16DefaultPtrTraitsElEENS_6detail16IndexBoundsCheckILm4ElEESD_Lm4ESE_lEENS7_INS8_ISB_SC_Lm3ESE_lEESI_SC_Lm4ESE_lEE,@function
_ZN2at6native12_GLOBAL__N_128upsample_bicubic2d_out_frameIddEEviT0_S3_bN5torch10headeronly6detail27GenericPackedTensorAccessorINS6_14TensorAccessorIN3c108ArrayRefIlEEKT_Lm3ENS5_16DefaultPtrTraitsElEENS_6detail16IndexBoundsCheckILm4ElEESD_Lm4ESE_lEENS7_INS8_ISB_SC_Lm3ESE_lEESI_SC_Lm4ESE_lEE: ; @_ZN2at6native12_GLOBAL__N_128upsample_bicubic2d_out_frameIddEEviT0_S3_bN5torch10headeronly6detail27GenericPackedTensorAccessorINS6_14TensorAccessorIN3c108ArrayRefIlEEKT_Lm3ENS5_16DefaultPtrTraitsElEENS_6detail16IndexBoundsCheckILm4ElEESD_Lm4ESE_lEENS7_INS8_ISB_SC_Lm3ESE_lEESI_SC_Lm4ESE_lEE
; %bb.0:
	s_load_dword s3, s[0:1], 0xbc
	s_load_dword s4, s[0:1], 0x0
	s_waitcnt lgkmcnt(0)
	s_and_b32 s3, s3, 0xffff
	s_mul_i32 s2, s2, s3
	v_add_u32_e32 v0, s2, v0
	v_cmp_gt_i32_e32 vcc, s4, v0
	s_and_saveexec_b64 s[2:3], vcc
	s_cbranch_execz .LBB1_14
; %bb.1:
	s_load_dwordx4 s[12:15], s[0:1], 0x80
	s_load_dwordx8 s[4:11], s[0:1], 0x28
	v_sub_u32_e32 v2, 0, v0
	v_max_i32_e32 v2, v0, v2
	s_waitcnt lgkmcnt(0)
	s_abs_i32 s13, s14
	v_cvt_f32_u32_e32 v1, s13
	s_sub_i32 s5, 0, s13
	v_xor_b32_e32 v3, s14, v0
	v_ashrrev_i32_e32 v3, 31, v3
	v_rcp_iflag_f32_e32 v1, v1
	s_cmp_lg_u32 s8, s12
	s_cselect_b64 s[2:3], -1, 0
	s_cmp_lg_u32 s10, s14
	v_mul_f32_e32 v1, 0x4f7ffffe, v1
	v_cvt_u32_f32_e32 v1, v1
	v_mul_lo_u32 v4, s5, v1
	v_mul_hi_u32 v4, v1, v4
	v_add_u32_e32 v1, v1, v4
	v_mul_hi_u32 v1, v2, v1
	v_mul_lo_u32 v4, v1, s13
	v_sub_u32_e32 v2, v2, v4
	v_add_u32_e32 v5, 1, v1
	v_cmp_le_u32_e32 vcc, s13, v2
	v_subrev_u32_e32 v4, s13, v2
	s_nop 0
	v_cndmask_b32_e32 v1, v1, v5, vcc
	v_cndmask_b32_e32 v2, v2, v4, vcc
	v_add_u32_e32 v4, 1, v1
	v_cmp_le_u32_e32 vcc, s13, v2
	s_cselect_b64 s[12:13], -1, 0
	s_nop 0
	v_cndmask_b32_e32 v1, v1, v4, vcc
	v_xor_b32_e32 v1, v1, v3
	v_sub_u32_e32 v53, v1, v3
	v_mul_lo_u32 v1, v53, s14
	s_or_b64 s[14:15], s[12:13], s[2:3]
	s_cmp_gt_i32 s4, 0
	v_sub_u32_e32 v52, v0, v1
	s_mov_b64 s[12:13], -1
	s_cselect_b64 s[2:3], -1, 0
	s_and_b64 vcc, exec, s[14:15]
	s_cbranch_vccz .LBB1_8
; %bb.2:
	s_andn2_b64 vcc, exec, s[2:3]
	s_cbranch_vccnz .LBB1_7
; %bb.3:
	s_load_dword s5, s[0:1], 0x18
	s_load_dwordx4 s[12:15], s[0:1], 0x8
	v_cvt_f64_i32_e32 v[0:1], v53
	v_add_f64 v[2:3], v[0:1], 0.5
	v_mov_b32_e32 v18, 0
	s_waitcnt lgkmcnt(0)
	s_bitcmp1_b32 s5, 0
	v_mul_f64 v[0:1], s[12:13], v[0:1]
	v_fma_f64 v[2:3], s[12:13], v[2:3], -0.5
	s_cselect_b64 vcc, -1, 0
	v_cndmask_b32_e32 v1, v3, v1, vcc
	v_cndmask_b32_e32 v0, v2, v0, vcc
	v_cvt_f32_f64_e32 v2, v[0:1]
	v_floor_f32_e32 v2, v2
	v_cvt_i32_f32_e32 v24, v2
	v_cvt_f64_i32_e32 v[2:3], v52
	v_mul_f64 v[4:5], s[14:15], v[2:3]
	v_add_f64 v[2:3], v[2:3], 0.5
	v_fma_f64 v[2:3], s[14:15], v[2:3], -0.5
	v_cndmask_b32_e32 v3, v3, v5, vcc
	v_cndmask_b32_e32 v2, v2, v4, vcc
	v_cvt_f32_f64_e32 v4, v[2:3]
	v_floor_f32_e32 v4, v4
	v_cvt_i32_f32_e32 v8, v4
	v_cvt_f64_i32_e32 v[4:5], v24
	v_add_f64 v[14:15], v[0:1], -v[4:5]
	s_cmp_gt_i32 s6, 0
	v_cvt_f64_i32_e32 v[0:1], v8
	v_add_f64 v[6:7], v[2:3], -v[0:1]
	s_cselect_b64 s[18:19], -1, 0
	v_add_u32_e32 v0, -1, v8
	s_add_i32 s20, s10, -1
	v_min_i32_e32 v0, s20, v0
	v_max_i32_e32 v26, 0, v0
	v_min_i32_e32 v0, s20, v8
	v_max_i32_e32 v27, 0, v0
	v_add_u32_e32 v0, 1, v8
	v_min_i32_e32 v0, s20, v0
	v_max_i32_e32 v28, 0, v0
	v_add_u32_e32 v0, 2, v8
	v_min_i32_e32 v0, s20, v0
	v_max_i32_e32 v29, 0, v0
	v_mov_b32_e32 v0, 0
	v_add_f64 v[2:3], v[6:7], 1.0
	v_mov_b32_e32 v1, 0x400e0000
	v_fmac_f64_e32 v[0:1], 0xbfe80000, v[2:3]
	v_mov_b32_e32 v19, 0xc0180000
	v_fma_f64 v[4:5], v[2:3], v[0:1], v[18:19]
	v_mov_b32_e32 v0, 0
	v_mov_b32_e32 v1, 0x40080000
	v_fma_f64 v[2:3], v[2:3], v[4:5], v[0:1]
	v_mov_b32_e32 v4, 0
	v_mov_b32_e32 v5, 0xc0020000
	v_fmac_f64_e32 v[4:5], 0x3ff40000, v[6:7]
	v_mul_f64 v[4:5], v[6:7], v[4:5]
	v_fma_f64 v[4:5], v[6:7], v[4:5], 1.0
	v_add_f64 v[8:9], -v[6:7], 1.0
	v_mov_b32_e32 v6, 0
	v_mov_b32_e32 v7, 0xc0020000
	v_fmac_f64_e32 v[6:7], 0x3ff40000, v[8:9]
	v_mul_f64 v[6:7], v[8:9], v[6:7]
	v_mov_b32_e32 v10, 0
	v_fma_f64 v[6:7], v[8:9], v[6:7], 1.0
	v_add_f64 v[8:9], v[8:9], 1.0
	v_mov_b32_e32 v11, 0x400e0000
	v_fmac_f64_e32 v[10:11], 0xbfe80000, v[8:9]
	v_fma_f64 v[10:11], v[8:9], v[10:11], v[18:19]
	v_mov_b32_e32 v12, 0
	v_fma_f64 v[8:9], v[8:9], v[10:11], v[0:1]
	v_add_f64 v[10:11], v[14:15], 1.0
	v_mov_b32_e32 v13, 0x400e0000
	v_fmac_f64_e32 v[12:13], 0xbfe80000, v[10:11]
	v_fma_f64 v[12:13], v[10:11], v[12:13], v[18:19]
	v_fma_f64 v[10:11], v[10:11], v[12:13], v[0:1]
	v_mov_b32_e32 v12, 0
	v_mov_b32_e32 v20, 0
	v_mov_b32_e32 v13, 0xc0020000
	v_mov_b32_e32 v21, 0xc0020000
	v_fmac_f64_e32 v[12:13], 0x3ff40000, v[14:15]
	v_add_f64 v[22:23], -v[14:15], 1.0
	s_load_dwordx8 s[20:27], s[0:1], 0x90
	v_mov_b32_e32 v16, 0
	v_mul_f64 v[12:13], v[14:15], v[12:13]
	v_fmac_f64_e32 v[20:21], 0x3ff40000, v[22:23]
	v_mov_b32_e32 v17, 0x400e0000
	v_fma_f64 v[12:13], v[14:15], v[12:13], 1.0
	v_mul_f64 v[14:15], v[22:23], v[20:21]
	v_add_f64 v[20:21], v[22:23], 1.0
	s_add_i32 s7, s8, -1
	s_load_dwordx8 s[8:15], s[0:1], 0x48
	s_load_dwordx2 s[28:29], s[0:1], 0x68
	v_fmac_f64_e32 v[16:17], 0xbfe80000, v[20:21]
	v_fmac_f64_e32 v[18:19], v[20:21], v[16:17]
	v_ashrrev_i32_e32 v16, 31, v53
	v_fmac_f64_e32 v[0:1], v[20:21], v[18:19]
	s_waitcnt lgkmcnt(0)
	v_mul_lo_u32 v18, s25, v53
	v_mul_lo_u32 v19, s24, v16
	v_mad_u64_u32 v[16:17], s[24:25], s24, v53, 0
	v_add3_u32 v17, v17, v19, v18
	v_ashrrev_i32_e32 v18, 31, v52
	v_mul_lo_u32 v20, s27, v52
	v_mul_lo_u32 v21, s26, v18
	v_mad_u64_u32 v[18:19], s[24:25], s26, v52, 0
	v_add_u32_e32 v25, -1, v24
	v_lshl_add_u64 v[16:17], v[16:17], 3, s[28:29]
	v_add3_u32 v19, v19, v21, v20
	v_lshl_add_u64 v[16:17], v[18:19], 3, v[16:17]
	v_min_i32_e32 v18, s7, v25
	v_max_i32_e32 v21, 0, v18
	v_min_i32_e32 v18, s7, v24
	v_max_i32_e32 v30, 0, v18
	v_add_u32_e32 v18, 1, v24
	v_min_i32_e32 v18, s7, v18
	v_max_i32_e32 v37, 0, v18
	v_add_u32_e32 v18, 2, v24
	v_min_i32_e32 v18, s7, v18
	v_max_i32_e32 v55, 0, v18
	v_mad_u64_u32 v[18:19], s[24:25], s12, v21, 0
	v_mov_b32_e32 v20, v19
	v_mad_u64_u32 v[20:21], s[24:25], s13, v21, v[20:21]
	v_mov_b32_e32 v19, v20
	v_lshlrev_b64 v[24:25], 3, v[18:19]
	v_mad_u64_u32 v[18:19], s[24:25], s14, v26, 0
	v_mov_b32_e32 v20, v19
	v_mad_u64_u32 v[20:21], s[24:25], s15, v26, v[20:21]
	v_mov_b32_e32 v19, v20
	v_mad_u64_u32 v[20:21], s[24:25], s14, v27, 0
	v_fma_f64 v[14:15], v[22:23], v[14:15], 1.0
	v_mov_b32_e32 v22, v21
	v_mad_u64_u32 v[22:23], s[24:25], s15, v27, v[22:23]
	v_mov_b32_e32 v21, v22
	v_mad_u64_u32 v[22:23], s[24:25], s14, v28, 0
	;; [unrolled: 2-line block ×5, first 2 shown]
	v_mov_b32_e32 v27, v28
	v_lshlrev_b64 v[48:49], 3, v[26:27]
	v_mad_u64_u32 v[26:27], s[14:15], s12, v30, 0
	v_mad_u64_u32 v[34:35], s[14:15], s12, v37, 0
	;; [unrolled: 1-line block ×3, first 2 shown]
	s_load_dwordx2 s[16:17], s[0:1], 0x20
	v_mov_b32_e32 v28, v27
	v_mov_b32_e32 v36, v35
	;; [unrolled: 1-line block ×3, first 2 shown]
	v_mad_u64_u32 v[28:29], s[14:15], s13, v30, v[28:29]
	v_mad_u64_u32 v[36:37], s[14:15], s13, v37, v[36:37]
	;; [unrolled: 1-line block ×3, first 2 shown]
	v_mov_b32_e32 v27, v28
	v_mov_b32_e32 v35, v36
	;; [unrolled: 1-line block ×3, first 2 shown]
	v_lshlrev_b64 v[42:43], 3, v[18:19]
	v_lshlrev_b64 v[44:45], 3, v[20:21]
	;; [unrolled: 1-line block ×6, first 2 shown]
	s_mov_b32 s5, 0
	s_lshl_b64 s[20:21], s[20:21], 3
	s_lshl_b64 s[22:23], s[22:23], 3
	v_lshl_add_u64 v[18:19], v[24:25], 0, v[42:43]
	s_lshl_b64 s[8:9], s[8:9], 3
	s_lshl_b64 s[10:11], s[10:11], 3
	v_lshl_add_u64 v[20:21], v[44:45], 0, v[24:25]
	v_lshl_add_u64 v[22:23], v[24:25], 0, v[46:47]
	;; [unrolled: 1-line block ×15, first 2 shown]
	s_branch .LBB1_5
.LBB1_4:                                ;   in Loop: Header=BB1_5 Depth=1
	s_add_i32 s5, s5, 1
	s_add_u32 s16, s16, s8
	s_addc_u32 s17, s17, s9
	s_cmp_lg_u32 s5, s4
	v_lshl_add_u64 v[16:17], v[16:17], 0, s[20:21]
	s_cbranch_scc0 .LBB1_7
.LBB1_5:                                ; =>This Loop Header: Depth=1
                                        ;     Child Loop BB1_6 Depth 2
	s_andn2_b64 vcc, exec, s[18:19]
	s_waitcnt lgkmcnt(0)
	s_mov_b64 s[12:13], s[16:17]
	v_mov_b64_e32 v[50:51], v[16:17]
	s_mov_b32 s7, s6
	s_cbranch_vccnz .LBB1_4
.LBB1_6:                                ;   Parent Loop BB1_5 Depth=1
                                        ; =>  This Inner Loop Header: Depth=2
	v_lshl_add_u64 v[54:55], s[12:13], 0, v[18:19]
	v_lshl_add_u64 v[56:57], s[12:13], 0, v[20:21]
	v_lshl_add_u64 v[58:59], s[12:13], 0, v[22:23]
	v_lshl_add_u64 v[60:61], s[12:13], 0, v[24:25]
	global_load_dwordx2 v[56:57], v[56:57], off
	s_nop 0
	global_load_dwordx2 v[58:59], v[58:59], off
	s_nop 0
	;; [unrolled: 2-line block ×3, first 2 shown]
	global_load_dwordx2 v[54:55], v[54:55], off
	v_lshl_add_u64 v[62:63], s[12:13], 0, v[26:27]
	v_lshl_add_u64 v[64:65], s[12:13], 0, v[28:29]
	;; [unrolled: 1-line block ×7, first 2 shown]
	global_load_dwordx2 v[64:65], v[64:65], off
	s_nop 0
	global_load_dwordx2 v[66:67], v[66:67], off
	s_nop 0
	;; [unrolled: 2-line block ×3, first 2 shown]
	global_load_dwordx2 v[62:63], v[62:63], off
	v_lshl_add_u64 v[74:75], s[12:13], 0, v[44:45]
	v_lshl_add_u64 v[76:77], s[12:13], 0, v[42:43]
	s_add_i32 s7, s7, -1
	s_waitcnt vmcnt(7)
	v_mul_f64 v[56:57], v[4:5], v[56:57]
	s_waitcnt vmcnt(4)
	v_fmac_f64_e32 v[56:57], v[2:3], v[54:55]
	v_lshl_add_u64 v[54:55], s[12:13], 0, v[40:41]
	global_load_dwordx2 v[70:71], v[70:71], off
	s_nop 0
	global_load_dwordx2 v[78:79], v[78:79], off
	s_nop 0
	;; [unrolled: 2-line block ×3, first 2 shown]
	global_load_dwordx2 v[72:73], v[72:73], off
	v_fmac_f64_e32 v[56:57], v[6:7], v[58:59]
	v_fmac_f64_e32 v[56:57], v[8:9], v[60:61]
	s_waitcnt vmcnt(7)
	v_mul_f64 v[64:65], v[4:5], v[64:65]
	s_waitcnt vmcnt(4)
	v_fmac_f64_e32 v[64:65], v[2:3], v[62:63]
	v_lshl_add_u64 v[62:63], s[12:13], 0, v[46:47]
	v_fmac_f64_e32 v[64:65], v[6:7], v[66:67]
	v_fmac_f64_e32 v[64:65], v[8:9], v[68:69]
	s_waitcnt vmcnt(3)
	v_mul_f64 v[70:71], v[4:5], v[70:71]
	s_waitcnt vmcnt(0)
	v_fmac_f64_e32 v[70:71], v[2:3], v[72:73]
	v_lshl_add_u64 v[72:73], s[12:13], 0, v[48:49]
	global_load_dwordx2 v[74:75], v[74:75], off
	s_nop 0
	global_load_dwordx2 v[62:63], v[62:63], off
	s_nop 0
	;; [unrolled: 2-line block ×3, first 2 shown]
	global_load_dwordx2 v[76:77], v[76:77], off
	v_fmac_f64_e32 v[70:71], v[6:7], v[78:79]
	v_fmac_f64_e32 v[70:71], v[8:9], v[54:55]
	v_mul_f64 v[54:55], v[10:11], v[56:57]
	v_fmac_f64_e32 v[54:55], v[12:13], v[64:65]
	s_add_u32 s12, s12, s10
	v_fmac_f64_e32 v[54:55], v[14:15], v[70:71]
	s_addc_u32 s13, s13, s11
	s_cmp_lg_u32 s7, 0
	s_waitcnt vmcnt(3)
	v_mul_f64 v[74:75], v[4:5], v[74:75]
	s_waitcnt vmcnt(0)
	v_fmac_f64_e32 v[74:75], v[2:3], v[76:77]
	v_fmac_f64_e32 v[74:75], v[6:7], v[62:63]
	;; [unrolled: 1-line block ×4, first 2 shown]
	global_store_dwordx2 v[50:51], v[54:55], off
	v_lshl_add_u64 v[50:51], v[50:51], 0, s[22:23]
	s_cbranch_scc1 .LBB1_6
	s_branch .LBB1_4
.LBB1_7:
	s_mov_b64 s[12:13], 0
.LBB1_8:
	s_andn2_b64 vcc, exec, s[12:13]
	s_cbranch_vccnz .LBB1_14
; %bb.9:
	s_andn2_b64 vcc, exec, s[2:3]
	s_cbranch_vccnz .LBB1_14
; %bb.10:
	s_load_dwordx8 s[8:15], s[0:1], 0x48
	s_load_dwordx2 s[2:3], s[0:1], 0x68
	s_load_dwordx2 s[16:17], s[0:1], 0x20
	v_ashrrev_i32_e32 v4, 31, v53
	v_ashrrev_i32_e32 v5, 31, v52
	s_cmp_gt_i32 s6, 0
	s_waitcnt lgkmcnt(0)
	v_mul_lo_u32 v2, s13, v53
	v_mul_lo_u32 v3, s12, v4
	v_mad_u64_u32 v[0:1], s[12:13], s12, v53, 0
	v_add3_u32 v1, v1, v3, v2
	v_lshl_add_u64 v[0:1], v[0:1], 3, s[16:17]
	s_load_dwordx8 s[16:23], s[0:1], 0x90
	v_mul_lo_u32 v6, s15, v52
	v_mul_lo_u32 v7, s14, v5
	v_mad_u64_u32 v[2:3], s[0:1], s14, v52, 0
	v_add3_u32 v3, v3, v7, v6
	v_lshl_add_u64 v[0:1], v[2:3], 3, v[0:1]
	s_waitcnt lgkmcnt(0)
	v_mul_lo_u32 v6, s21, v53
	v_mul_lo_u32 v4, s20, v4
	v_mad_u64_u32 v[2:3], s[0:1], s20, v53, 0
	v_add3_u32 v3, v3, v4, v6
	v_mul_lo_u32 v6, s23, v52
	v_mul_lo_u32 v7, s22, v5
	v_mad_u64_u32 v[4:5], s[0:1], s22, v52, 0
	s_cselect_b64 s[24:25], -1, 0
	v_lshl_add_u64 v[2:3], v[2:3], 3, s[2:3]
	v_add3_u32 v5, v5, v7, v6
	v_lshl_add_u64 v[2:3], v[4:5], 3, v[2:3]
	v_cndmask_b32_e64 v4, 0, 1, s[24:25]
	s_mov_b32 s5, 0
	s_lshl_b64 s[2:3], s[16:17], 3
	s_lshl_b64 s[12:13], s[18:19], 3
	;; [unrolled: 1-line block ×4, first 2 shown]
	v_cmp_ne_u32_e64 s[0:1], 1, v4
	s_branch .LBB1_12
.LBB1_11:                               ;   in Loop: Header=BB1_12 Depth=1
	s_add_i32 s5, s5, 1
	v_lshl_add_u64 v[2:3], v[2:3], 0, s[2:3]
	s_cmp_eq_u32 s5, s4
	v_lshl_add_u64 v[0:1], v[0:1], 0, s[8:9]
	s_cbranch_scc1 .LBB1_14
.LBB1_12:                               ; =>This Loop Header: Depth=1
                                        ;     Child Loop BB1_13 Depth 2
	s_and_b64 vcc, exec, s[0:1]
	v_mov_b64_e32 v[4:5], v[0:1]
	v_mov_b64_e32 v[6:7], v[2:3]
	s_mov_b32 s7, s6
	s_cbranch_vccnz .LBB1_11
.LBB1_13:                               ;   Parent Loop BB1_12 Depth=1
                                        ; =>  This Inner Loop Header: Depth=2
	global_load_dwordx2 v[8:9], v[4:5], off
	s_add_i32 s7, s7, -1
	v_lshl_add_u64 v[4:5], v[4:5], 0, s[10:11]
	s_cmp_eq_u32 s7, 0
	s_waitcnt vmcnt(0)
	global_store_dwordx2 v[6:7], v[8:9], off
	v_lshl_add_u64 v[6:7], v[6:7], 0, s[12:13]
	s_cbranch_scc0 .LBB1_13
	s_branch .LBB1_11
.LBB1_14:
	s_endpgm
	.section	.rodata,"a",@progbits
	.p2align	6, 0x0
	.amdhsa_kernel _ZN2at6native12_GLOBAL__N_128upsample_bicubic2d_out_frameIddEEviT0_S3_bN5torch10headeronly6detail27GenericPackedTensorAccessorINS6_14TensorAccessorIN3c108ArrayRefIlEEKT_Lm3ENS5_16DefaultPtrTraitsElEENS_6detail16IndexBoundsCheckILm4ElEESD_Lm4ESE_lEENS7_INS8_ISB_SC_Lm3ESE_lEESI_SC_Lm4ESE_lEE
		.amdhsa_group_segment_fixed_size 0
		.amdhsa_private_segment_fixed_size 0
		.amdhsa_kernarg_size 432
		.amdhsa_user_sgpr_count 2
		.amdhsa_user_sgpr_dispatch_ptr 0
		.amdhsa_user_sgpr_queue_ptr 0
		.amdhsa_user_sgpr_kernarg_segment_ptr 1
		.amdhsa_user_sgpr_dispatch_id 0
		.amdhsa_user_sgpr_kernarg_preload_length 0
		.amdhsa_user_sgpr_kernarg_preload_offset 0
		.amdhsa_user_sgpr_private_segment_size 0
		.amdhsa_uses_dynamic_stack 0
		.amdhsa_enable_private_segment 0
		.amdhsa_system_sgpr_workgroup_id_x 1
		.amdhsa_system_sgpr_workgroup_id_y 0
		.amdhsa_system_sgpr_workgroup_id_z 0
		.amdhsa_system_sgpr_workgroup_info 0
		.amdhsa_system_vgpr_workitem_id 0
		.amdhsa_next_free_vgpr 80
		.amdhsa_next_free_sgpr 30
		.amdhsa_accum_offset 80
		.amdhsa_reserve_vcc 1
		.amdhsa_float_round_mode_32 0
		.amdhsa_float_round_mode_16_64 0
		.amdhsa_float_denorm_mode_32 3
		.amdhsa_float_denorm_mode_16_64 3
		.amdhsa_dx10_clamp 1
		.amdhsa_ieee_mode 1
		.amdhsa_fp16_overflow 0
		.amdhsa_tg_split 0
		.amdhsa_exception_fp_ieee_invalid_op 0
		.amdhsa_exception_fp_denorm_src 0
		.amdhsa_exception_fp_ieee_div_zero 0
		.amdhsa_exception_fp_ieee_overflow 0
		.amdhsa_exception_fp_ieee_underflow 0
		.amdhsa_exception_fp_ieee_inexact 0
		.amdhsa_exception_int_div_zero 0
	.end_amdhsa_kernel
	.section	.text._ZN2at6native12_GLOBAL__N_128upsample_bicubic2d_out_frameIddEEviT0_S3_bN5torch10headeronly6detail27GenericPackedTensorAccessorINS6_14TensorAccessorIN3c108ArrayRefIlEEKT_Lm3ENS5_16DefaultPtrTraitsElEENS_6detail16IndexBoundsCheckILm4ElEESD_Lm4ESE_lEENS7_INS8_ISB_SC_Lm3ESE_lEESI_SC_Lm4ESE_lEE,"axG",@progbits,_ZN2at6native12_GLOBAL__N_128upsample_bicubic2d_out_frameIddEEviT0_S3_bN5torch10headeronly6detail27GenericPackedTensorAccessorINS6_14TensorAccessorIN3c108ArrayRefIlEEKT_Lm3ENS5_16DefaultPtrTraitsElEENS_6detail16IndexBoundsCheckILm4ElEESD_Lm4ESE_lEENS7_INS8_ISB_SC_Lm3ESE_lEESI_SC_Lm4ESE_lEE,comdat
.Lfunc_end1:
	.size	_ZN2at6native12_GLOBAL__N_128upsample_bicubic2d_out_frameIddEEviT0_S3_bN5torch10headeronly6detail27GenericPackedTensorAccessorINS6_14TensorAccessorIN3c108ArrayRefIlEEKT_Lm3ENS5_16DefaultPtrTraitsElEENS_6detail16IndexBoundsCheckILm4ElEESD_Lm4ESE_lEENS7_INS8_ISB_SC_Lm3ESE_lEESI_SC_Lm4ESE_lEE, .Lfunc_end1-_ZN2at6native12_GLOBAL__N_128upsample_bicubic2d_out_frameIddEEviT0_S3_bN5torch10headeronly6detail27GenericPackedTensorAccessorINS6_14TensorAccessorIN3c108ArrayRefIlEEKT_Lm3ENS5_16DefaultPtrTraitsElEENS_6detail16IndexBoundsCheckILm4ElEESD_Lm4ESE_lEENS7_INS8_ISB_SC_Lm3ESE_lEESI_SC_Lm4ESE_lEE
                                        ; -- End function
	.set _ZN2at6native12_GLOBAL__N_128upsample_bicubic2d_out_frameIddEEviT0_S3_bN5torch10headeronly6detail27GenericPackedTensorAccessorINS6_14TensorAccessorIN3c108ArrayRefIlEEKT_Lm3ENS5_16DefaultPtrTraitsElEENS_6detail16IndexBoundsCheckILm4ElEESD_Lm4ESE_lEENS7_INS8_ISB_SC_Lm3ESE_lEESI_SC_Lm4ESE_lEE.num_vgpr, 80
	.set _ZN2at6native12_GLOBAL__N_128upsample_bicubic2d_out_frameIddEEviT0_S3_bN5torch10headeronly6detail27GenericPackedTensorAccessorINS6_14TensorAccessorIN3c108ArrayRefIlEEKT_Lm3ENS5_16DefaultPtrTraitsElEENS_6detail16IndexBoundsCheckILm4ElEESD_Lm4ESE_lEENS7_INS8_ISB_SC_Lm3ESE_lEESI_SC_Lm4ESE_lEE.num_agpr, 0
	.set _ZN2at6native12_GLOBAL__N_128upsample_bicubic2d_out_frameIddEEviT0_S3_bN5torch10headeronly6detail27GenericPackedTensorAccessorINS6_14TensorAccessorIN3c108ArrayRefIlEEKT_Lm3ENS5_16DefaultPtrTraitsElEENS_6detail16IndexBoundsCheckILm4ElEESD_Lm4ESE_lEENS7_INS8_ISB_SC_Lm3ESE_lEESI_SC_Lm4ESE_lEE.numbered_sgpr, 30
	.set _ZN2at6native12_GLOBAL__N_128upsample_bicubic2d_out_frameIddEEviT0_S3_bN5torch10headeronly6detail27GenericPackedTensorAccessorINS6_14TensorAccessorIN3c108ArrayRefIlEEKT_Lm3ENS5_16DefaultPtrTraitsElEENS_6detail16IndexBoundsCheckILm4ElEESD_Lm4ESE_lEENS7_INS8_ISB_SC_Lm3ESE_lEESI_SC_Lm4ESE_lEE.num_named_barrier, 0
	.set _ZN2at6native12_GLOBAL__N_128upsample_bicubic2d_out_frameIddEEviT0_S3_bN5torch10headeronly6detail27GenericPackedTensorAccessorINS6_14TensorAccessorIN3c108ArrayRefIlEEKT_Lm3ENS5_16DefaultPtrTraitsElEENS_6detail16IndexBoundsCheckILm4ElEESD_Lm4ESE_lEENS7_INS8_ISB_SC_Lm3ESE_lEESI_SC_Lm4ESE_lEE.private_seg_size, 0
	.set _ZN2at6native12_GLOBAL__N_128upsample_bicubic2d_out_frameIddEEviT0_S3_bN5torch10headeronly6detail27GenericPackedTensorAccessorINS6_14TensorAccessorIN3c108ArrayRefIlEEKT_Lm3ENS5_16DefaultPtrTraitsElEENS_6detail16IndexBoundsCheckILm4ElEESD_Lm4ESE_lEENS7_INS8_ISB_SC_Lm3ESE_lEESI_SC_Lm4ESE_lEE.uses_vcc, 1
	.set _ZN2at6native12_GLOBAL__N_128upsample_bicubic2d_out_frameIddEEviT0_S3_bN5torch10headeronly6detail27GenericPackedTensorAccessorINS6_14TensorAccessorIN3c108ArrayRefIlEEKT_Lm3ENS5_16DefaultPtrTraitsElEENS_6detail16IndexBoundsCheckILm4ElEESD_Lm4ESE_lEENS7_INS8_ISB_SC_Lm3ESE_lEESI_SC_Lm4ESE_lEE.uses_flat_scratch, 0
	.set _ZN2at6native12_GLOBAL__N_128upsample_bicubic2d_out_frameIddEEviT0_S3_bN5torch10headeronly6detail27GenericPackedTensorAccessorINS6_14TensorAccessorIN3c108ArrayRefIlEEKT_Lm3ENS5_16DefaultPtrTraitsElEENS_6detail16IndexBoundsCheckILm4ElEESD_Lm4ESE_lEENS7_INS8_ISB_SC_Lm3ESE_lEESI_SC_Lm4ESE_lEE.has_dyn_sized_stack, 0
	.set _ZN2at6native12_GLOBAL__N_128upsample_bicubic2d_out_frameIddEEviT0_S3_bN5torch10headeronly6detail27GenericPackedTensorAccessorINS6_14TensorAccessorIN3c108ArrayRefIlEEKT_Lm3ENS5_16DefaultPtrTraitsElEENS_6detail16IndexBoundsCheckILm4ElEESD_Lm4ESE_lEENS7_INS8_ISB_SC_Lm3ESE_lEESI_SC_Lm4ESE_lEE.has_recursion, 0
	.set _ZN2at6native12_GLOBAL__N_128upsample_bicubic2d_out_frameIddEEviT0_S3_bN5torch10headeronly6detail27GenericPackedTensorAccessorINS6_14TensorAccessorIN3c108ArrayRefIlEEKT_Lm3ENS5_16DefaultPtrTraitsElEENS_6detail16IndexBoundsCheckILm4ElEESD_Lm4ESE_lEENS7_INS8_ISB_SC_Lm3ESE_lEESI_SC_Lm4ESE_lEE.has_indirect_call, 0
	.section	.AMDGPU.csdata,"",@progbits
; Kernel info:
; codeLenInByte = 2304
; TotalNumSgprs: 36
; NumVgprs: 80
; NumAgprs: 0
; TotalNumVgprs: 80
; ScratchSize: 0
; MemoryBound: 0
; FloatMode: 240
; IeeeMode: 1
; LDSByteSize: 0 bytes/workgroup (compile time only)
; SGPRBlocks: 4
; VGPRBlocks: 9
; NumSGPRsForWavesPerEU: 36
; NumVGPRsForWavesPerEU: 80
; AccumOffset: 80
; Occupancy: 6
; WaveLimiterHint : 1
; COMPUTE_PGM_RSRC2:SCRATCH_EN: 0
; COMPUTE_PGM_RSRC2:USER_SGPR: 2
; COMPUTE_PGM_RSRC2:TRAP_HANDLER: 0
; COMPUTE_PGM_RSRC2:TGID_X_EN: 1
; COMPUTE_PGM_RSRC2:TGID_Y_EN: 0
; COMPUTE_PGM_RSRC2:TGID_Z_EN: 0
; COMPUTE_PGM_RSRC2:TIDIG_COMP_CNT: 0
; COMPUTE_PGM_RSRC3_GFX90A:ACCUM_OFFSET: 19
; COMPUTE_PGM_RSRC3_GFX90A:TG_SPLIT: 0
	.section	.text._ZN2at6native12_GLOBAL__N_137upsample_bicubic2d_out_frame_parallelIffEEviT0_S3_bN5torch10headeronly6detail27GenericPackedTensorAccessorINS6_14TensorAccessorIN3c108ArrayRefIlEEKT_Lm3ENS5_16DefaultPtrTraitsElEENS_6detail16IndexBoundsCheckILm4ElEESD_Lm4ESE_lEENS7_INS8_ISB_SC_Lm3ESE_lEESI_SC_Lm4ESE_lEE,"axG",@progbits,_ZN2at6native12_GLOBAL__N_137upsample_bicubic2d_out_frame_parallelIffEEviT0_S3_bN5torch10headeronly6detail27GenericPackedTensorAccessorINS6_14TensorAccessorIN3c108ArrayRefIlEEKT_Lm3ENS5_16DefaultPtrTraitsElEENS_6detail16IndexBoundsCheckILm4ElEESD_Lm4ESE_lEENS7_INS8_ISB_SC_Lm3ESE_lEESI_SC_Lm4ESE_lEE,comdat
	.globl	_ZN2at6native12_GLOBAL__N_137upsample_bicubic2d_out_frame_parallelIffEEviT0_S3_bN5torch10headeronly6detail27GenericPackedTensorAccessorINS6_14TensorAccessorIN3c108ArrayRefIlEEKT_Lm3ENS5_16DefaultPtrTraitsElEENS_6detail16IndexBoundsCheckILm4ElEESD_Lm4ESE_lEENS7_INS8_ISB_SC_Lm3ESE_lEESI_SC_Lm4ESE_lEE ; -- Begin function _ZN2at6native12_GLOBAL__N_137upsample_bicubic2d_out_frame_parallelIffEEviT0_S3_bN5torch10headeronly6detail27GenericPackedTensorAccessorINS6_14TensorAccessorIN3c108ArrayRefIlEEKT_Lm3ENS5_16DefaultPtrTraitsElEENS_6detail16IndexBoundsCheckILm4ElEESD_Lm4ESE_lEENS7_INS8_ISB_SC_Lm3ESE_lEESI_SC_Lm4ESE_lEE
	.p2align	8
	.type	_ZN2at6native12_GLOBAL__N_137upsample_bicubic2d_out_frame_parallelIffEEviT0_S3_bN5torch10headeronly6detail27GenericPackedTensorAccessorINS6_14TensorAccessorIN3c108ArrayRefIlEEKT_Lm3ENS5_16DefaultPtrTraitsElEENS_6detail16IndexBoundsCheckILm4ElEESD_Lm4ESE_lEENS7_INS8_ISB_SC_Lm3ESE_lEESI_SC_Lm4ESE_lEE,@function
_ZN2at6native12_GLOBAL__N_137upsample_bicubic2d_out_frame_parallelIffEEviT0_S3_bN5torch10headeronly6detail27GenericPackedTensorAccessorINS6_14TensorAccessorIN3c108ArrayRefIlEEKT_Lm3ENS5_16DefaultPtrTraitsElEENS_6detail16IndexBoundsCheckILm4ElEESD_Lm4ESE_lEENS7_INS8_ISB_SC_Lm3ESE_lEESI_SC_Lm4ESE_lEE: ; @_ZN2at6native12_GLOBAL__N_137upsample_bicubic2d_out_frame_parallelIffEEviT0_S3_bN5torch10headeronly6detail27GenericPackedTensorAccessorINS6_14TensorAccessorIN3c108ArrayRefIlEEKT_Lm3ENS5_16DefaultPtrTraitsElEENS_6detail16IndexBoundsCheckILm4ElEESD_Lm4ESE_lEENS7_INS8_ISB_SC_Lm3ESE_lEESI_SC_Lm4ESE_lEE
; %bb.0:
	s_load_dword s4, s[0:1], 0xac
	s_load_dwordx4 s[8:11], s[0:1], 0x0
	s_add_u32 s28, s0, 0xa0
	s_addc_u32 s29, s1, 0
	s_waitcnt lgkmcnt(0)
	s_and_b32 s4, s4, 0xffff
	s_mul_i32 s2, s2, s4
	v_add_u32_e32 v0, s2, v0
	v_cmp_gt_i32_e32 vcc, s8, v0
	s_and_saveexec_b64 s[4:5], vcc
	s_cbranch_execz .LBB2_10
; %bb.1:
	s_load_dwordx4 s[4:7], s[0:1], 0x70
	v_sub_u32_e32 v2, 0, v0
	v_max_i32_e32 v2, v0, v2
	s_load_dword s12, s[0:1], 0x18
	s_load_dwordx4 s[24:27], s[0:1], 0x20
	s_load_dword s8, s[0:1], 0x30
	s_waitcnt lgkmcnt(0)
	s_abs_i32 s2, s6
	v_cvt_f32_u32_e32 v1, s2
	s_sub_i32 s5, 0, s2
	v_xor_b32_e32 v3, s6, v0
	v_ashrrev_i32_e32 v3, 31, v3
	v_rcp_iflag_f32_e32 v1, v1
	s_cmp_lg_u32 s26, s4
	v_mul_f32_e32 v1, 0x4f7ffffe, v1
	v_cvt_u32_f32_e32 v1, v1
	v_mul_lo_u32 v4, s5, v1
	v_mul_hi_u32 v4, v1, v4
	v_add_u32_e32 v1, v1, v4
	v_mul_hi_u32 v1, v2, v1
	v_mul_lo_u32 v4, v1, s2
	v_sub_u32_e32 v2, v2, v4
	v_add_u32_e32 v5, 1, v1
	v_cmp_le_u32_e32 vcc, s2, v2
	v_subrev_u32_e32 v4, s2, v2
	s_cselect_b64 s[4:5], -1, 0
	v_cndmask_b32_e32 v1, v1, v5, vcc
	v_cndmask_b32_e32 v2, v2, v4, vcc
	v_add_u32_e32 v4, 1, v1
	v_cmp_le_u32_e32 vcc, s2, v2
	s_cmp_lg_u32 s8, s6
	s_mul_i32 s2, s24, s12
	v_cndmask_b32_e32 v1, v1, v4, vcc
	v_xor_b32_e32 v1, v1, v3
	v_sub_u32_e32 v31, v1, v3
	v_mul_lo_u32 v1, v31, s6
	s_cselect_b64 s[6:7], -1, 0
	s_or_b64 s[4:5], s[6:7], s[4:5]
	s_cmp_lt_i32 s3, s2
	s_cselect_b64 s[12:13], -1, 0
	v_sub_u32_e32 v30, v0, v1
	v_cndmask_b32_e64 v0, 0, 1, s[12:13]
	s_mov_b64 s[6:7], -1
	s_and_b64 vcc, exec, s[4:5]
	v_cmp_ne_u32_e64 s[4:5], 1, v0
	s_cbranch_vccz .LBB2_6
; %bb.2:
	s_and_b64 vcc, exec, s[4:5]
	s_cbranch_vccnz .LBB2_5
; %bb.3:
	v_cvt_f32_i32_e32 v0, v31
	s_bitcmp1_b32 s11, 0
	v_cvt_f32_i32_e32 v1, v30
	s_cselect_b64 vcc, -1, 0
	v_mul_f32_e32 v2, s9, v0
	v_add_f32_e32 v0, 0.5, v0
	v_fma_f32 v0, s9, v0, -0.5
	v_cndmask_b32_e32 v0, v0, v2, vcc
	v_floor_f32_e32 v2, v0
	v_cvt_i32_f32_e32 v3, v2
	v_mul_f32_e32 v2, s10, v1
	v_add_f32_e32 v1, 0.5, v1
	v_fma_f32 v1, s10, v1, -0.5
	v_cndmask_b32_e32 v1, v1, v2, vcc
	v_floor_f32_e32 v2, v1
	v_cvt_i32_f32_e32 v2, v2
	v_cvt_f32_i32_e32 v4, v3
	s_add_i32 s18, s8, -1
	s_load_dwordx8 s[8:15], s[0:1], 0x38
	v_cvt_f32_i32_e32 v5, v2
	v_sub_f32_e32 v8, v0, v4
	v_add_u32_e32 v0, -1, v2
	v_min_i32_e32 v0, s18, v0
	v_sub_f32_e32 v7, v1, v5
	v_max_i32_e32 v1, 0, v0
	s_waitcnt lgkmcnt(0)
	v_mad_u64_u32 v[22:23], s[16:17], s14, v1, 0
	v_mov_b32_e32 v0, v23
	v_mad_u64_u32 v[0:1], s[16:17], s15, v1, v[0:1]
	v_mov_b32_e32 v23, v0
	v_min_i32_e32 v0, s18, v2
	v_max_i32_e32 v1, 0, v0
	v_mad_u64_u32 v[24:25], s[16:17], s14, v1, 0
	v_mov_b32_e32 v0, v25
	v_mad_u64_u32 v[0:1], s[16:17], s15, v1, v[0:1]
	v_mov_b32_e32 v25, v0
	v_add_u32_e32 v0, 1, v2
	v_min_i32_e32 v0, s18, v0
	v_max_i32_e32 v1, 0, v0
	v_mad_u64_u32 v[26:27], s[16:17], s14, v1, 0
	v_mov_b32_e32 v0, v27
	v_mad_u64_u32 v[0:1], s[16:17], s15, v1, v[0:1]
	v_mov_b32_e32 v27, v0
	v_add_u32_e32 v0, 2, v2
	v_min_i32_e32 v0, s18, v0
	v_max_i32_e32 v1, 0, v0
	v_mad_u64_u32 v[28:29], s[16:17], s14, v1, 0
	v_mov_b32_e32 v0, v29
	v_mad_u64_u32 v[0:1], s[14:15], s15, v1, v[0:1]
	v_add_f32_e32 v10, 1.0, v7
	v_mov_b32_e32 v1, 0x40700000
	v_mov_b32_e32 v29, v0
	v_fmamk_f32 v0, v10, 0xbf400000, v1
	v_mov_b32_e32 v15, 0xc0100000
	v_fmaak_f32 v6, v10, v0, 0xc0c00000
	v_fmamk_f32 v0, v7, 0x3fa00000, v15
	v_sub_f32_e32 v2, 1.0, v7
	v_mul_f32_e32 v11, v7, v0
	v_fmamk_f32 v0, v2, 0x3fa00000, v15
	v_mul_f32_e32 v0, v2, v0
	v_add_f32_e32 v4, 1.0, v2
	v_fma_f32 v0, v2, v0, 1.0
	v_fmamk_f32 v2, v4, 0xbf400000, v1
	s_mov_b32 s14, 1.0
	v_fmaak_f32 v5, v4, v2, 0xc0c00000
	v_mov_b32_e32 v2, 0x40400000
	s_mov_b32 s15, 0x40400000
	v_fmac_f32_e32 v2, v4, v5
	v_add_f32_e32 v5, 1.0, v8
	v_fmamk_f32 v4, v5, 0xbf400000, v1
	s_mov_b32 s16, s15
	s_mov_b32 s17, s14
	v_fmaak_f32 v9, v5, v4, 0xc0c00000
	v_fmamk_f32 v4, v8, 0x3fa00000, v15
	v_pk_fma_f32 v[6:7], v[6:7], v[10:11], s[16:17]
	s_load_dwordx8 s[16:23], s[0:1], 0x80
	v_mul_f32_e32 v4, v8, v4
	v_sub_f32_e32 v12, 1.0, v8
	v_pk_fma_f32 v[4:5], v[8:9], v[4:5], s[14:15]
	v_add_f32_e32 v9, 1.0, v12
	v_mov_b32_e32 v13, 0xc0c00000
	v_fmac_f32_e32 v15, 0x3fa00000, v12
	v_fmac_f32_e32 v1, 0xbf400000, v9
	v_mul_f32_e32 v8, v12, v15
	v_fmac_f32_e32 v13, v9, v1
	v_ashrrev_i32_e32 v1, 31, v31
	v_pk_fma_f32 v[8:9], v[8:9], v[12:13], s[14:15]
	s_waitcnt lgkmcnt(0)
	v_mul_lo_u32 v12, s21, v31
	v_mul_lo_u32 v1, s20, v1
	v_mad_u64_u32 v[10:11], s[14:15], s20, v31, 0
	v_add3_u32 v11, v11, v1, v12
	v_ashrrev_i32_e32 v1, 31, v30
	v_add_u32_e32 v14, -1, v3
	s_add_i32 s25, s26, -1
	v_mul_lo_u32 v15, s23, v30
	v_mul_lo_u32 v1, s22, v1
	v_mad_u64_u32 v[12:13], s[14:15], s22, v30, 0
	v_add3_u32 v13, v13, v1, v15
	v_min_i32_e32 v1, s25, v14
	v_max_i32_e32 v1, 0, v1
	v_mad_u64_u32 v[14:15], s[20:21], s12, v1, 0
	v_mov_b32_e32 v16, v15
	v_mad_u64_u32 v[16:17], s[20:21], s13, v1, v[16:17]
	v_min_i32_e32 v1, s25, v3
	v_max_i32_e32 v1, 0, v1
	v_mov_b32_e32 v15, v16
	v_mad_u64_u32 v[16:17], s[20:21], s12, v1, 0
	v_mov_b32_e32 v18, v17
	v_mad_u64_u32 v[18:19], s[20:21], s13, v1, v[18:19]
	v_add_u32_e32 v1, 1, v3
	v_min_i32_e32 v1, s25, v1
	v_max_i32_e32 v1, 0, v1
	v_mov_b32_e32 v17, v18
	v_mad_u64_u32 v[18:19], s[20:21], s12, v1, 0
	v_mov_b32_e32 v20, v19
	s_abs_i32 s15, s24
	v_mad_u64_u32 v[20:21], s[20:21], s13, v1, v[20:21]
	v_add_u32_e32 v1, 2, v3
	v_cvt_f32_u32_e32 v3, s15
	v_min_i32_e32 v1, s25, v1
	v_max_i32_e32 v1, 0, v1
	v_mov_b32_e32 v19, v20
	v_rcp_iflag_f32_e32 v34, v3
	v_mad_u64_u32 v[20:21], s[20:21], s12, v1, 0
	v_mov_b32_e32 v32, v21
	v_mad_u64_u32 v[32:33], s[12:13], s13, v1, v[32:33]
	v_mul_f32_e32 v1, 0x4f7ffffe, v34
	v_mov_b32_e32 v21, v32
	v_cvt_u32_f32_e32 v32, v1
	s_load_dwordx2 s[6:7], s[0:1], 0x10
	s_load_dwordx2 s[26:27], s[0:1], 0x58
	s_load_dword s14, s[28:29], 0x8
	s_sub_i32 s13, 0, s15
	v_readfirstlane_b32 s20, v32
	s_mul_i32 s13, s13, s20
	s_mul_hi_u32 s13, s20, s13
	v_mov_b32_e32 v3, v2
	v_mov_b32_e32 v1, v0
	s_ashr_i32 s12, s24, 31
	s_add_i32 s13, s20, s13
	s_sub_i32 s20, 0, s24
	v_lshlrev_b64 v[22:23], 2, v[22:23]
	v_lshlrev_b64 v[24:25], 2, v[24:25]
	;; [unrolled: 1-line block ×4, first 2 shown]
	s_mov_b32 s21, s3
.LBB2_4:                                ; =>This Inner Loop Header: Depth=1
	s_abs_i32 s23, s21
	s_mul_hi_u32 s25, s23, s13
	s_mul_i32 s30, s25, s15
	s_ashr_i32 s22, s21, 31
	s_sub_i32 s23, s23, s30
	s_xor_b32 s22, s22, s12
	s_add_i32 s31, s25, 1
	s_sub_i32 s30, s23, s15
	s_cmp_ge_u32 s23, s15
	s_cselect_b32 s25, s31, s25
	s_cselect_b32 s23, s30, s23
	s_add_i32 s30, s25, 1
	s_cmp_ge_u32 s23, s15
	s_cselect_b32 s23, s30, s25
	s_xor_b32 s23, s23, s22
	s_sub_i32 s25, s23, s22
	s_mul_i32 s23, s20, s25
	s_ashr_i32 s33, s25, 31
	s_mul_hi_u32 s30, s8, s25
	s_add_i32 s34, s21, s23
	s_mul_i32 s23, s8, s33
	s_mul_i32 s31, s9, s25
	s_add_i32 s23, s30, s23
	s_mul_i32 s22, s8, s25
	s_add_i32 s23, s23, s31
	s_lshl_b64 s[22:23], s[22:23], 2
	s_waitcnt lgkmcnt(0)
	s_add_u32 s37, s6, s22
	s_addc_u32 s38, s7, s23
	s_ashr_i32 s39, s34, 31
	s_mul_hi_u32 s35, s10, s34
	s_mul_i32 s22, s10, s39
	s_mul_i32 s36, s11, s34
	s_add_i32 s22, s35, s22
	s_mul_i32 s30, s10, s34
	s_add_i32 s31, s22, s36
	s_lshl_b64 s[22:23], s[30:31], 2
	s_add_u32 s22, s37, s22
	s_addc_u32 s23, s38, s23
	v_lshl_add_u64 v[32:33], v[14:15], 2, s[22:23]
	v_lshl_add_u64 v[34:35], v[16:17], 2, s[22:23]
	;; [unrolled: 1-line block ×4, first 2 shown]
	global_load_dword v63, v[42:43], off
	global_load_dword v62, v[46:47], off
	v_lshl_add_u64 v[36:37], v[18:19], 2, s[22:23]
	v_lshl_add_u64 v[38:39], v[20:21], 2, s[22:23]
	;; [unrolled: 1-line block ×16, first 2 shown]
	global_load_dword v46, v[40:41], off
	global_load_dword v65, v[44:45], off
                                        ; kill: killed $vgpr40_vgpr41
                                        ; kill: killed $vgpr44_vgpr45
	s_nop 0
	global_load_dword v41, v[32:33], off
	global_load_dword v47, v[48:49], off
	global_load_dword v64, v[50:51], off
	global_load_dword v40, v[34:35], off
                                        ; kill: killed $vgpr34_vgpr35
                                        ; kill: killed $vgpr50_vgpr51
                                        ; kill: killed $vgpr48_vgpr49
                                        ; kill: killed $vgpr32_vgpr33
	s_nop 0
	global_load_dword v33, v[54:55], off
	global_load_dword v32, v[58:59], off
	;; [unrolled: 1-line block ×8, first 2 shown]
	s_mul_hi_u32 s23, s16, s25
	s_mul_i32 s31, s17, s25
	s_mul_i32 s22, s16, s25
	;; [unrolled: 1-line block ×3, first 2 shown]
	s_add_i32 s23, s23, s25
	s_add_i32 s23, s23, s31
	s_lshl_b64 s[22:23], s[22:23], 2
	s_mul_hi_u32 s33, s18, s34
	s_mul_i32 s35, s19, s34
	s_mul_i32 s30, s18, s34
	;; [unrolled: 1-line block ×3, first 2 shown]
	s_add_u32 s25, s26, s22
	s_addc_u32 s36, s27, s23
	s_add_i32 s22, s33, s34
	s_add_i32 s31, s22, s35
	s_lshl_b64 s[22:23], s[30:31], 2
	s_add_u32 s22, s25, s22
	s_addc_u32 s23, s36, s23
	s_add_i32 s21, s21, s14
	v_lshl_add_u64 v[36:37], v[10:11], 2, s[22:23]
	s_cmp_lt_i32 s21, s2
	v_lshl_add_u64 v[36:37], v[12:13], 2, v[36:37]
	s_waitcnt vmcnt(10)
	v_pk_mul_f32 v[38:39], v[6:7], v[46:47]
	s_nop 0
	v_pk_fma_f32 v[38:39], v[6:7], v[62:63], v[38:39] op_sel:[0,0,1] op_sel_hi:[1,1,0]
	s_waitcnt vmcnt(6)
	v_pk_mul_f32 v[32:33], v[6:7], v[32:33]
	s_waitcnt vmcnt(4)
	v_pk_fma_f32 v[32:33], v[6:7], v[34:35], v[32:33] op_sel:[0,0,1] op_sel_hi:[1,1,0]
	v_pk_fma_f32 v[34:35], v[0:1], v[64:65], v[38:39]
	s_waitcnt vmcnt(2)
	v_pk_fma_f32 v[32:33], v[0:1], v[44:45], v[32:33]
	v_pk_fma_f32 v[34:35], v[2:3], v[40:41], v[34:35]
	s_waitcnt vmcnt(0)
	v_pk_fma_f32 v[32:33], v[2:3], v[48:49], v[32:33]
	v_pk_mul_f32 v[34:35], v[4:5], v[34:35]
	v_pk_mul_f32 v[32:33], v[8:9], v[32:33]
	v_add_f32_e32 v34, v34, v35
	v_add_f32_e32 v32, v32, v34
	;; [unrolled: 1-line block ×3, first 2 shown]
	global_store_dword v[36:37], v32, off
	s_cbranch_scc1 .LBB2_4
.LBB2_5:
	s_mov_b64 s[6:7], 0
.LBB2_6:
	s_andn2_b64 vcc, exec, s[6:7]
	s_cbranch_vccnz .LBB2_10
; %bb.7:
	s_and_b64 vcc, exec, s[4:5]
	s_cbranch_vccnz .LBB2_10
; %bb.8:
	s_load_dwordx8 s[4:11], s[0:1], 0x38
	s_load_dwordx2 s[20:21], s[0:1], 0x10
	s_load_dwordx2 s[22:23], s[0:1], 0x58
	s_load_dwordx8 s[12:19], s[0:1], 0x80
	v_ashrrev_i32_e32 v4, 31, v31
	s_waitcnt lgkmcnt(0)
	v_mul_lo_u32 v2, s9, v31
	v_mul_lo_u32 v3, s8, v4
	v_mad_u64_u32 v[0:1], s[8:9], s8, v31, 0
	v_ashrrev_i32_e32 v6, 31, v30
	v_add3_u32 v1, v1, v3, v2
	v_mul_lo_u32 v5, s11, v30
	v_mul_lo_u32 v7, s10, v6
	v_mad_u64_u32 v[2:3], s[0:1], s10, v30, 0
	v_add3_u32 v3, v3, v7, v5
	v_mul_lo_u32 v8, s16, v4
	v_mad_u64_u32 v[4:5], s[0:1], s16, v31, 0
	s_abs_i32 s0, s24
	s_nop 0
	v_cvt_f32_u32_e32 v9, s0
	v_mul_lo_u32 v7, s17, v31
	v_add3_u32 v5, v5, v8, v7
	v_mul_lo_u32 v8, s19, v30
	v_rcp_iflag_f32_e32 v9, v9
	v_mul_lo_u32 v10, s18, v6
	v_mad_u64_u32 v[6:7], s[8:9], s18, v30, 0
	v_add3_u32 v7, v7, v10, v8
	v_mul_f32_e32 v8, 0x4f7ffffe, v9
	v_cvt_u32_f32_e32 v8, v8
	s_load_dword s1, s[28:29], 0x8
	s_sub_i32 s9, 0, s0
	s_ashr_i32 s8, s24, 31
	v_readfirstlane_b32 s10, v8
	s_mul_i32 s9, s9, s10
	s_mul_hi_u32 s9, s10, s9
	s_add_i32 s9, s10, s9
	s_sub_i32 s10, 0, s24
.LBB2_9:                                ; =>This Inner Loop Header: Depth=1
	s_abs_i32 s16, s3
	s_mul_hi_u32 s17, s16, s9
	s_mul_i32 s18, s17, s0
	s_ashr_i32 s11, s3, 31
	s_sub_i32 s16, s16, s18
	s_xor_b32 s11, s11, s8
	s_add_i32 s19, s17, 1
	s_sub_i32 s18, s16, s0
	s_cmp_ge_u32 s16, s0
	s_cselect_b32 s17, s19, s17
	s_cselect_b32 s16, s18, s16
	s_add_i32 s18, s17, 1
	s_cmp_ge_u32 s16, s0
	s_cselect_b32 s16, s18, s17
	s_xor_b32 s16, s16, s11
	s_sub_i32 s11, s16, s11
	s_mul_i32 s17, s10, s11
	s_ashr_i32 s24, s11, 31
	s_mul_hi_u32 s18, s4, s11
	s_add_i32 s25, s3, s17
	s_mul_i32 s17, s4, s24
	s_mul_i32 s19, s5, s11
	s_add_i32 s17, s18, s17
	s_mul_i32 s16, s4, s11
	s_add_i32 s17, s17, s19
	s_lshl_b64 s[16:17], s[16:17], 2
	s_add_u32 s28, s20, s16
	s_addc_u32 s29, s21, s17
	s_ashr_i32 s30, s25, 31
	s_mul_hi_u32 s26, s6, s25
	s_mul_i32 s16, s6, s30
	s_mul_i32 s27, s7, s25
	s_add_i32 s16, s26, s16
	s_mul_i32 s18, s6, s25
	s_add_i32 s19, s16, s27
	s_lshl_b64 s[16:17], s[18:19], 2
	s_add_u32 s16, s28, s16
	s_addc_u32 s17, s29, s17
	v_lshl_add_u64 v[8:9], v[0:1], 2, s[16:17]
	v_lshl_add_u64 v[8:9], v[2:3], 2, v[8:9]
	global_load_dword v10, v[8:9], off
	s_mul_hi_u32 s17, s12, s11
	s_mul_i32 s19, s13, s11
	s_mul_i32 s16, s12, s11
	;; [unrolled: 1-line block ×3, first 2 shown]
	s_add_i32 s11, s17, s11
	s_add_i32 s17, s11, s19
	s_lshl_b64 s[16:17], s[16:17], 2
	s_mul_hi_u32 s24, s14, s25
	s_mul_i32 s26, s15, s25
	s_mul_i32 s18, s14, s25
	;; [unrolled: 1-line block ×3, first 2 shown]
	s_add_u32 s11, s22, s16
	s_addc_u32 s27, s23, s17
	s_add_i32 s16, s24, s25
	s_add_i32 s19, s16, s26
	s_lshl_b64 s[16:17], s[18:19], 2
	s_add_u32 s16, s11, s16
	s_addc_u32 s17, s27, s17
	s_waitcnt lgkmcnt(0)
	s_add_i32 s3, s3, s1
	v_lshl_add_u64 v[8:9], v[4:5], 2, s[16:17]
	s_cmp_ge_i32 s3, s2
	v_lshl_add_u64 v[8:9], v[6:7], 2, v[8:9]
	s_waitcnt vmcnt(0)
	global_store_dword v[8:9], v10, off
	s_cbranch_scc0 .LBB2_9
.LBB2_10:
	s_endpgm
	.section	.rodata,"a",@progbits
	.p2align	6, 0x0
	.amdhsa_kernel _ZN2at6native12_GLOBAL__N_137upsample_bicubic2d_out_frame_parallelIffEEviT0_S3_bN5torch10headeronly6detail27GenericPackedTensorAccessorINS6_14TensorAccessorIN3c108ArrayRefIlEEKT_Lm3ENS5_16DefaultPtrTraitsElEENS_6detail16IndexBoundsCheckILm4ElEESD_Lm4ESE_lEENS7_INS8_ISB_SC_Lm3ESE_lEESI_SC_Lm4ESE_lEE
		.amdhsa_group_segment_fixed_size 0
		.amdhsa_private_segment_fixed_size 0
		.amdhsa_kernarg_size 416
		.amdhsa_user_sgpr_count 2
		.amdhsa_user_sgpr_dispatch_ptr 0
		.amdhsa_user_sgpr_queue_ptr 0
		.amdhsa_user_sgpr_kernarg_segment_ptr 1
		.amdhsa_user_sgpr_dispatch_id 0
		.amdhsa_user_sgpr_kernarg_preload_length 0
		.amdhsa_user_sgpr_kernarg_preload_offset 0
		.amdhsa_user_sgpr_private_segment_size 0
		.amdhsa_uses_dynamic_stack 0
		.amdhsa_enable_private_segment 0
		.amdhsa_system_sgpr_workgroup_id_x 1
		.amdhsa_system_sgpr_workgroup_id_y 0
		.amdhsa_system_sgpr_workgroup_id_z 1
		.amdhsa_system_sgpr_workgroup_info 0
		.amdhsa_system_vgpr_workitem_id 0
		.amdhsa_next_free_vgpr 66
		.amdhsa_next_free_sgpr 40
		.amdhsa_accum_offset 68
		.amdhsa_reserve_vcc 1
		.amdhsa_float_round_mode_32 0
		.amdhsa_float_round_mode_16_64 0
		.amdhsa_float_denorm_mode_32 3
		.amdhsa_float_denorm_mode_16_64 3
		.amdhsa_dx10_clamp 1
		.amdhsa_ieee_mode 1
		.amdhsa_fp16_overflow 0
		.amdhsa_tg_split 0
		.amdhsa_exception_fp_ieee_invalid_op 0
		.amdhsa_exception_fp_denorm_src 0
		.amdhsa_exception_fp_ieee_div_zero 0
		.amdhsa_exception_fp_ieee_overflow 0
		.amdhsa_exception_fp_ieee_underflow 0
		.amdhsa_exception_fp_ieee_inexact 0
		.amdhsa_exception_int_div_zero 0
	.end_amdhsa_kernel
	.section	.text._ZN2at6native12_GLOBAL__N_137upsample_bicubic2d_out_frame_parallelIffEEviT0_S3_bN5torch10headeronly6detail27GenericPackedTensorAccessorINS6_14TensorAccessorIN3c108ArrayRefIlEEKT_Lm3ENS5_16DefaultPtrTraitsElEENS_6detail16IndexBoundsCheckILm4ElEESD_Lm4ESE_lEENS7_INS8_ISB_SC_Lm3ESE_lEESI_SC_Lm4ESE_lEE,"axG",@progbits,_ZN2at6native12_GLOBAL__N_137upsample_bicubic2d_out_frame_parallelIffEEviT0_S3_bN5torch10headeronly6detail27GenericPackedTensorAccessorINS6_14TensorAccessorIN3c108ArrayRefIlEEKT_Lm3ENS5_16DefaultPtrTraitsElEENS_6detail16IndexBoundsCheckILm4ElEESD_Lm4ESE_lEENS7_INS8_ISB_SC_Lm3ESE_lEESI_SC_Lm4ESE_lEE,comdat
.Lfunc_end2:
	.size	_ZN2at6native12_GLOBAL__N_137upsample_bicubic2d_out_frame_parallelIffEEviT0_S3_bN5torch10headeronly6detail27GenericPackedTensorAccessorINS6_14TensorAccessorIN3c108ArrayRefIlEEKT_Lm3ENS5_16DefaultPtrTraitsElEENS_6detail16IndexBoundsCheckILm4ElEESD_Lm4ESE_lEENS7_INS8_ISB_SC_Lm3ESE_lEESI_SC_Lm4ESE_lEE, .Lfunc_end2-_ZN2at6native12_GLOBAL__N_137upsample_bicubic2d_out_frame_parallelIffEEviT0_S3_bN5torch10headeronly6detail27GenericPackedTensorAccessorINS6_14TensorAccessorIN3c108ArrayRefIlEEKT_Lm3ENS5_16DefaultPtrTraitsElEENS_6detail16IndexBoundsCheckILm4ElEESD_Lm4ESE_lEENS7_INS8_ISB_SC_Lm3ESE_lEESI_SC_Lm4ESE_lEE
                                        ; -- End function
	.set _ZN2at6native12_GLOBAL__N_137upsample_bicubic2d_out_frame_parallelIffEEviT0_S3_bN5torch10headeronly6detail27GenericPackedTensorAccessorINS6_14TensorAccessorIN3c108ArrayRefIlEEKT_Lm3ENS5_16DefaultPtrTraitsElEENS_6detail16IndexBoundsCheckILm4ElEESD_Lm4ESE_lEENS7_INS8_ISB_SC_Lm3ESE_lEESI_SC_Lm4ESE_lEE.num_vgpr, 66
	.set _ZN2at6native12_GLOBAL__N_137upsample_bicubic2d_out_frame_parallelIffEEviT0_S3_bN5torch10headeronly6detail27GenericPackedTensorAccessorINS6_14TensorAccessorIN3c108ArrayRefIlEEKT_Lm3ENS5_16DefaultPtrTraitsElEENS_6detail16IndexBoundsCheckILm4ElEESD_Lm4ESE_lEENS7_INS8_ISB_SC_Lm3ESE_lEESI_SC_Lm4ESE_lEE.num_agpr, 0
	.set _ZN2at6native12_GLOBAL__N_137upsample_bicubic2d_out_frame_parallelIffEEviT0_S3_bN5torch10headeronly6detail27GenericPackedTensorAccessorINS6_14TensorAccessorIN3c108ArrayRefIlEEKT_Lm3ENS5_16DefaultPtrTraitsElEENS_6detail16IndexBoundsCheckILm4ElEESD_Lm4ESE_lEENS7_INS8_ISB_SC_Lm3ESE_lEESI_SC_Lm4ESE_lEE.numbered_sgpr, 40
	.set _ZN2at6native12_GLOBAL__N_137upsample_bicubic2d_out_frame_parallelIffEEviT0_S3_bN5torch10headeronly6detail27GenericPackedTensorAccessorINS6_14TensorAccessorIN3c108ArrayRefIlEEKT_Lm3ENS5_16DefaultPtrTraitsElEENS_6detail16IndexBoundsCheckILm4ElEESD_Lm4ESE_lEENS7_INS8_ISB_SC_Lm3ESE_lEESI_SC_Lm4ESE_lEE.num_named_barrier, 0
	.set _ZN2at6native12_GLOBAL__N_137upsample_bicubic2d_out_frame_parallelIffEEviT0_S3_bN5torch10headeronly6detail27GenericPackedTensorAccessorINS6_14TensorAccessorIN3c108ArrayRefIlEEKT_Lm3ENS5_16DefaultPtrTraitsElEENS_6detail16IndexBoundsCheckILm4ElEESD_Lm4ESE_lEENS7_INS8_ISB_SC_Lm3ESE_lEESI_SC_Lm4ESE_lEE.private_seg_size, 0
	.set _ZN2at6native12_GLOBAL__N_137upsample_bicubic2d_out_frame_parallelIffEEviT0_S3_bN5torch10headeronly6detail27GenericPackedTensorAccessorINS6_14TensorAccessorIN3c108ArrayRefIlEEKT_Lm3ENS5_16DefaultPtrTraitsElEENS_6detail16IndexBoundsCheckILm4ElEESD_Lm4ESE_lEENS7_INS8_ISB_SC_Lm3ESE_lEESI_SC_Lm4ESE_lEE.uses_vcc, 1
	.set _ZN2at6native12_GLOBAL__N_137upsample_bicubic2d_out_frame_parallelIffEEviT0_S3_bN5torch10headeronly6detail27GenericPackedTensorAccessorINS6_14TensorAccessorIN3c108ArrayRefIlEEKT_Lm3ENS5_16DefaultPtrTraitsElEENS_6detail16IndexBoundsCheckILm4ElEESD_Lm4ESE_lEENS7_INS8_ISB_SC_Lm3ESE_lEESI_SC_Lm4ESE_lEE.uses_flat_scratch, 0
	.set _ZN2at6native12_GLOBAL__N_137upsample_bicubic2d_out_frame_parallelIffEEviT0_S3_bN5torch10headeronly6detail27GenericPackedTensorAccessorINS6_14TensorAccessorIN3c108ArrayRefIlEEKT_Lm3ENS5_16DefaultPtrTraitsElEENS_6detail16IndexBoundsCheckILm4ElEESD_Lm4ESE_lEENS7_INS8_ISB_SC_Lm3ESE_lEESI_SC_Lm4ESE_lEE.has_dyn_sized_stack, 0
	.set _ZN2at6native12_GLOBAL__N_137upsample_bicubic2d_out_frame_parallelIffEEviT0_S3_bN5torch10headeronly6detail27GenericPackedTensorAccessorINS6_14TensorAccessorIN3c108ArrayRefIlEEKT_Lm3ENS5_16DefaultPtrTraitsElEENS_6detail16IndexBoundsCheckILm4ElEESD_Lm4ESE_lEENS7_INS8_ISB_SC_Lm3ESE_lEESI_SC_Lm4ESE_lEE.has_recursion, 0
	.set _ZN2at6native12_GLOBAL__N_137upsample_bicubic2d_out_frame_parallelIffEEviT0_S3_bN5torch10headeronly6detail27GenericPackedTensorAccessorINS6_14TensorAccessorIN3c108ArrayRefIlEEKT_Lm3ENS5_16DefaultPtrTraitsElEENS_6detail16IndexBoundsCheckILm4ElEESD_Lm4ESE_lEENS7_INS8_ISB_SC_Lm3ESE_lEESI_SC_Lm4ESE_lEE.has_indirect_call, 0
	.section	.AMDGPU.csdata,"",@progbits
; Kernel info:
; codeLenInByte = 2340
; TotalNumSgprs: 46
; NumVgprs: 66
; NumAgprs: 0
; TotalNumVgprs: 66
; ScratchSize: 0
; MemoryBound: 0
; FloatMode: 240
; IeeeMode: 1
; LDSByteSize: 0 bytes/workgroup (compile time only)
; SGPRBlocks: 5
; VGPRBlocks: 8
; NumSGPRsForWavesPerEU: 46
; NumVGPRsForWavesPerEU: 66
; AccumOffset: 68
; Occupancy: 7
; WaveLimiterHint : 1
; COMPUTE_PGM_RSRC2:SCRATCH_EN: 0
; COMPUTE_PGM_RSRC2:USER_SGPR: 2
; COMPUTE_PGM_RSRC2:TRAP_HANDLER: 0
; COMPUTE_PGM_RSRC2:TGID_X_EN: 1
; COMPUTE_PGM_RSRC2:TGID_Y_EN: 0
; COMPUTE_PGM_RSRC2:TGID_Z_EN: 1
; COMPUTE_PGM_RSRC2:TIDIG_COMP_CNT: 0
; COMPUTE_PGM_RSRC3_GFX90A:ACCUM_OFFSET: 16
; COMPUTE_PGM_RSRC3_GFX90A:TG_SPLIT: 0
	.section	.text._ZN2at6native12_GLOBAL__N_128upsample_bicubic2d_out_frameIffEEviT0_S3_bN5torch10headeronly6detail27GenericPackedTensorAccessorINS6_14TensorAccessorIN3c108ArrayRefIlEEKT_Lm3ENS5_16DefaultPtrTraitsElEENS_6detail16IndexBoundsCheckILm4ElEESD_Lm4ESE_lEENS7_INS8_ISB_SC_Lm3ESE_lEESI_SC_Lm4ESE_lEE,"axG",@progbits,_ZN2at6native12_GLOBAL__N_128upsample_bicubic2d_out_frameIffEEviT0_S3_bN5torch10headeronly6detail27GenericPackedTensorAccessorINS6_14TensorAccessorIN3c108ArrayRefIlEEKT_Lm3ENS5_16DefaultPtrTraitsElEENS_6detail16IndexBoundsCheckILm4ElEESD_Lm4ESE_lEENS7_INS8_ISB_SC_Lm3ESE_lEESI_SC_Lm4ESE_lEE,comdat
	.globl	_ZN2at6native12_GLOBAL__N_128upsample_bicubic2d_out_frameIffEEviT0_S3_bN5torch10headeronly6detail27GenericPackedTensorAccessorINS6_14TensorAccessorIN3c108ArrayRefIlEEKT_Lm3ENS5_16DefaultPtrTraitsElEENS_6detail16IndexBoundsCheckILm4ElEESD_Lm4ESE_lEENS7_INS8_ISB_SC_Lm3ESE_lEESI_SC_Lm4ESE_lEE ; -- Begin function _ZN2at6native12_GLOBAL__N_128upsample_bicubic2d_out_frameIffEEviT0_S3_bN5torch10headeronly6detail27GenericPackedTensorAccessorINS6_14TensorAccessorIN3c108ArrayRefIlEEKT_Lm3ENS5_16DefaultPtrTraitsElEENS_6detail16IndexBoundsCheckILm4ElEESD_Lm4ESE_lEENS7_INS8_ISB_SC_Lm3ESE_lEESI_SC_Lm4ESE_lEE
	.p2align	8
	.type	_ZN2at6native12_GLOBAL__N_128upsample_bicubic2d_out_frameIffEEviT0_S3_bN5torch10headeronly6detail27GenericPackedTensorAccessorINS6_14TensorAccessorIN3c108ArrayRefIlEEKT_Lm3ENS5_16DefaultPtrTraitsElEENS_6detail16IndexBoundsCheckILm4ElEESD_Lm4ESE_lEENS7_INS8_ISB_SC_Lm3ESE_lEESI_SC_Lm4ESE_lEE,@function
_ZN2at6native12_GLOBAL__N_128upsample_bicubic2d_out_frameIffEEviT0_S3_bN5torch10headeronly6detail27GenericPackedTensorAccessorINS6_14TensorAccessorIN3c108ArrayRefIlEEKT_Lm3ENS5_16DefaultPtrTraitsElEENS_6detail16IndexBoundsCheckILm4ElEESD_Lm4ESE_lEENS7_INS8_ISB_SC_Lm3ESE_lEESI_SC_Lm4ESE_lEE: ; @_ZN2at6native12_GLOBAL__N_128upsample_bicubic2d_out_frameIffEEviT0_S3_bN5torch10headeronly6detail27GenericPackedTensorAccessorINS6_14TensorAccessorIN3c108ArrayRefIlEEKT_Lm3ENS5_16DefaultPtrTraitsElEENS_6detail16IndexBoundsCheckILm4ElEESD_Lm4ESE_lEENS7_INS8_ISB_SC_Lm3ESE_lEESI_SC_Lm4ESE_lEE
; %bb.0:
	s_load_dword s3, s[0:1], 0xac
	s_load_dwordx4 s[12:15], s[0:1], 0x0
	s_waitcnt lgkmcnt(0)
	s_and_b32 s3, s3, 0xffff
	s_mul_i32 s2, s2, s3
	v_add_u32_e32 v0, s2, v0
	v_cmp_gt_i32_e32 vcc, s12, v0
	s_and_saveexec_b64 s[2:3], vcc
	s_cbranch_execz .LBB3_14
; %bb.1:
	s_load_dwordx4 s[16:19], s[0:1], 0x70
	s_load_dwordx8 s[4:11], s[0:1], 0x18
	v_sub_u32_e32 v2, 0, v0
	v_max_i32_e32 v2, v0, v2
	s_waitcnt lgkmcnt(0)
	s_abs_i32 s12, s18
	v_cvt_f32_u32_e32 v1, s12
	s_sub_i32 s5, 0, s12
	v_xor_b32_e32 v3, s18, v0
	v_ashrrev_i32_e32 v3, 31, v3
	v_rcp_iflag_f32_e32 v1, v1
	s_cmp_lg_u32 s8, s16
	s_cselect_b64 s[2:3], -1, 0
	s_cmp_lg_u32 s10, s18
	v_mul_f32_e32 v1, 0x4f7ffffe, v1
	v_cvt_u32_f32_e32 v1, v1
	s_cselect_b64 s[16:17], -1, 0
	v_mul_lo_u32 v4, s5, v1
	v_mul_hi_u32 v4, v1, v4
	v_add_u32_e32 v1, v1, v4
	v_mul_hi_u32 v1, v2, v1
	v_mul_lo_u32 v4, v1, s12
	v_sub_u32_e32 v2, v2, v4
	v_add_u32_e32 v5, 1, v1
	v_cmp_le_u32_e32 vcc, s12, v2
	v_subrev_u32_e32 v4, s12, v2
	s_nop 0
	v_cndmask_b32_e32 v1, v1, v5, vcc
	v_cndmask_b32_e32 v2, v2, v4, vcc
	v_add_u32_e32 v4, 1, v1
	v_cmp_le_u32_e32 vcc, s12, v2
	s_nop 1
	v_cndmask_b32_e32 v1, v1, v4, vcc
	v_xor_b32_e32 v1, v1, v3
	v_sub_u32_e32 v47, v1, v3
	v_mul_lo_u32 v1, v47, s18
	s_or_b64 s[18:19], s[16:17], s[2:3]
	s_cmp_gt_i32 s4, 0
	v_sub_u32_e32 v46, v0, v1
	s_mov_b64 s[16:17], -1
	s_cselect_b64 s[2:3], -1, 0
	s_and_b64 vcc, exec, s[18:19]
	s_cbranch_vccz .LBB3_8
; %bb.2:
	s_andn2_b64 vcc, exec, s[2:3]
	s_cbranch_vccnz .LBB3_7
; %bb.3:
	v_cvt_f32_i32_e32 v0, v47
	s_bitcmp1_b32 s15, 0
	v_cvt_f32_i32_e32 v1, v46
	s_cselect_b64 vcc, -1, 0
	v_mul_f32_e32 v2, s13, v0
	v_add_f32_e32 v0, 0.5, v0
	v_fma_f32 v0, s13, v0, -0.5
	v_cndmask_b32_e32 v0, v0, v2, vcc
	v_floor_f32_e32 v2, v0
	v_cvt_i32_f32_e32 v3, v2
	v_mul_f32_e32 v2, s14, v1
	v_add_f32_e32 v1, 0.5, v1
	v_fma_f32 v1, s14, v1, -0.5
	v_cndmask_b32_e32 v1, v1, v2, vcc
	v_floor_f32_e32 v2, v1
	v_cvt_i32_f32_e32 v2, v2
	v_cvt_f32_i32_e32 v4, v3
	s_cmp_gt_i32 s6, 0
	s_cselect_b64 s[16:17], -1, 0
	s_add_i32 s20, s10, -1
	v_sub_f32_e32 v8, v0, v4
	v_add_u32_e32 v0, -1, v2
	v_cvt_f32_i32_e32 v5, v2
	v_min_i32_e32 v0, s20, v0
	v_max_i32_e32 v16, 0, v0
	v_min_i32_e32 v0, s20, v2
	v_max_i32_e32 v17, 0, v0
	v_add_u32_e32 v0, 1, v2
	v_min_i32_e32 v0, s20, v0
	v_sub_f32_e32 v7, v1, v5
	v_max_i32_e32 v21, 0, v0
	v_add_u32_e32 v0, 2, v2
	v_min_i32_e32 v0, s20, v0
	v_add_f32_e32 v10, 1.0, v7
	v_mov_b32_e32 v14, 0x40700000
	v_max_i32_e32 v23, 0, v0
	v_fmamk_f32 v0, v10, 0xbf400000, v14
	v_mov_b32_e32 v15, 0xc0100000
	v_fmaak_f32 v6, v10, v0, 0xc0c00000
	v_fmamk_f32 v0, v7, 0x3fa00000, v15
	v_sub_f32_e32 v2, 1.0, v7
	v_mul_f32_e32 v11, v7, v0
	v_fmamk_f32 v0, v2, 0x3fa00000, v15
	v_mul_f32_e32 v0, v2, v0
	v_add_f32_e32 v4, 1.0, v2
	v_fma_f32 v0, v2, v0, 1.0
	v_fmamk_f32 v2, v4, 0xbf400000, v14
	s_mov_b32 s30, 1.0
	v_fmaak_f32 v5, v4, v2, 0xc0c00000
	v_mov_b32_e32 v2, 0x40400000
	s_mov_b32 s31, 0x40400000
	v_fmac_f32_e32 v2, v4, v5
	v_add_f32_e32 v5, 1.0, v8
	v_fmamk_f32 v4, v5, 0xbf400000, v14
	s_mov_b32 s20, s31
	s_mov_b32 s21, s30
	v_fmaak_f32 v9, v5, v4, 0xc0c00000
	v_fmamk_f32 v4, v8, 0x3fa00000, v15
	v_pk_fma_f32 v[6:7], v[6:7], v[10:11], s[20:21]
	s_load_dwordx8 s[20:27], s[0:1], 0x80
	v_mul_f32_e32 v4, v8, v4
	v_sub_f32_e32 v12, 1.0, v8
	v_pk_fma_f32 v[4:5], v[8:9], v[4:5], s[30:31]
	v_add_f32_e32 v9, 1.0, v12
	s_add_i32 s7, s8, -1
	s_load_dwordx2 s[18:19], s[0:1], 0x10
	s_load_dwordx8 s[8:15], s[0:1], 0x38
	s_load_dwordx2 s[28:29], s[0:1], 0x58
	v_mov_b32_e32 v13, 0xc0c00000
	v_fmac_f32_e32 v15, 0x3fa00000, v12
	v_fmac_f32_e32 v14, 0xbf400000, v9
	v_mul_f32_e32 v8, v12, v15
	v_fmac_f32_e32 v13, v9, v14
	v_ashrrev_i32_e32 v10, 31, v47
	v_pk_fma_f32 v[8:9], v[8:9], v[12:13], s[30:31]
	s_waitcnt lgkmcnt(0)
	v_mul_lo_u32 v12, s25, v47
	v_mul_lo_u32 v13, s24, v10
	v_mad_u64_u32 v[10:11], s[24:25], s24, v47, 0
	v_add_u32_e32 v1, -1, v3
	v_add3_u32 v11, v11, v13, v12
	v_ashrrev_i32_e32 v12, 31, v46
	v_mul_lo_u32 v14, s27, v46
	v_mul_lo_u32 v15, s26, v12
	v_mad_u64_u32 v[12:13], s[24:25], s26, v46, 0
	v_min_i32_e32 v1, s7, v1
	v_lshl_add_u64 v[10:11], v[10:11], 2, s[28:29]
	v_add3_u32 v13, v13, v15, v14
	v_max_i32_e32 v15, 0, v1
	v_lshl_add_u64 v[10:11], v[12:13], 2, v[10:11]
	v_mad_u64_u32 v[12:13], s[24:25], s12, v15, 0
	v_mov_b32_e32 v14, v13
	v_mad_u64_u32 v[14:15], s[24:25], s13, v15, v[14:15]
	v_mov_b32_e32 v13, v14
	v_lshlrev_b64 v[18:19], 2, v[12:13]
	v_mad_u64_u32 v[12:13], s[24:25], s14, v16, 0
	v_mov_b32_e32 v14, v13
	v_mad_u64_u32 v[14:15], s[24:25], s15, v16, v[14:15]
	v_mov_b32_e32 v13, v14
	v_mad_u64_u32 v[14:15], s[24:25], s14, v17, 0
	v_mov_b32_e32 v16, v15
	v_mad_u64_u32 v[16:17], s[24:25], s15, v17, v[16:17]
	v_mov_b32_e32 v15, v16
	v_mad_u64_u32 v[16:17], s[24:25], s14, v21, 0
	v_min_i32_e32 v1, s7, v3
	v_mov_b32_e32 v20, v17
	v_max_i32_e32 v24, 0, v1
	v_add_u32_e32 v1, 1, v3
	v_mad_u64_u32 v[20:21], s[24:25], s15, v21, v[20:21]
	v_min_i32_e32 v1, s7, v1
	v_mov_b32_e32 v17, v20
	v_mad_u64_u32 v[20:21], s[24:25], s14, v23, 0
	v_max_i32_e32 v31, 0, v1
	v_add_u32_e32 v1, 2, v3
	v_mov_b32_e32 v22, v21
	v_min_i32_e32 v1, s7, v1
	v_mad_u64_u32 v[22:23], s[14:15], s15, v23, v[22:23]
	v_max_i32_e32 v49, 0, v1
	v_mov_b32_e32 v21, v22
	v_lshlrev_b64 v[42:43], 2, v[20:21]
	v_mad_u64_u32 v[20:21], s[14:15], s12, v24, 0
	v_mad_u64_u32 v[28:29], s[14:15], s12, v31, 0
	;; [unrolled: 1-line block ×3, first 2 shown]
	v_mov_b32_e32 v22, v21
	v_mov_b32_e32 v30, v29
	;; [unrolled: 1-line block ×3, first 2 shown]
	v_mad_u64_u32 v[22:23], s[14:15], s13, v24, v[22:23]
	v_mad_u64_u32 v[30:31], s[14:15], s13, v31, v[30:31]
	;; [unrolled: 1-line block ×3, first 2 shown]
	v_mov_b32_e32 v21, v22
	v_mov_b32_e32 v29, v30
	;; [unrolled: 1-line block ×3, first 2 shown]
	v_lshlrev_b64 v[36:37], 2, v[12:13]
	v_lshlrev_b64 v[38:39], 2, v[14:15]
	;; [unrolled: 1-line block ×6, first 2 shown]
	s_mov_b32 s5, 0
	v_mov_b32_e32 v3, v2
	v_mov_b32_e32 v1, v0
	s_lshl_b64 s[20:21], s[20:21], 2
	s_lshl_b64 s[22:23], s[22:23], 2
	v_lshl_add_u64 v[12:13], v[18:19], 0, v[36:37]
	s_lshl_b64 s[8:9], s[8:9], 2
	s_lshl_b64 s[10:11], s[10:11], 2
	v_lshl_add_u64 v[14:15], v[38:39], 0, v[18:19]
	v_lshl_add_u64 v[16:17], v[18:19], 0, v[40:41]
	;; [unrolled: 1-line block ×15, first 2 shown]
	s_branch .LBB3_5
.LBB3_4:                                ;   in Loop: Header=BB3_5 Depth=1
	s_add_i32 s5, s5, 1
	s_add_u32 s18, s18, s8
	s_addc_u32 s19, s19, s9
	s_cmp_lg_u32 s5, s4
	v_lshl_add_u64 v[10:11], v[10:11], 0, s[20:21]
	s_cbranch_scc0 .LBB3_7
.LBB3_5:                                ; =>This Loop Header: Depth=1
                                        ;     Child Loop BB3_6 Depth 2
	s_andn2_b64 vcc, exec, s[16:17]
	s_mov_b64 s[12:13], s[18:19]
	v_mov_b64_e32 v[44:45], v[10:11]
	s_mov_b32 s7, s6
	s_cbranch_vccnz .LBB3_4
.LBB3_6:                                ;   Parent Loop BB3_5 Depth=1
                                        ; =>  This Inner Loop Header: Depth=2
	v_lshl_add_u64 v[50:51], s[12:13], 0, v[14:15]
	v_lshl_add_u64 v[52:53], s[12:13], 0, v[16:17]
	;; [unrolled: 1-line block ×6, first 2 shown]
	global_load_dword v51, v[50:51], off
	s_nop 0
	global_load_dword v50, v[54:55], off
	s_nop 0
	global_load_dword v53, v[52:53], off
	s_nop 0
	global_load_dword v52, v[58:59], off
	v_lshl_add_u64 v[58:59], s[12:13], 0, v[26:27]
	v_lshl_add_u64 v[54:55], s[12:13], 0, v[18:19]
	global_load_dword v57, v[56:57], off
	s_nop 0
	global_load_dword v58, v[58:59], off
	s_nop 0
	global_load_dword v59, v[54:55], off
	global_load_dword v56, v[48:49], off
	v_lshl_add_u64 v[60:61], s[12:13], 0, v[30:31]
	v_lshl_add_u64 v[62:63], s[12:13], 0, v[36:37]
	v_lshl_add_u64 v[66:67], s[12:13], 0, v[38:39]
	v_lshl_add_u64 v[48:49], s[12:13], 0, v[42:43]
	v_lshl_add_u64 v[64:65], s[12:13], 0, v[28:29]
	v_lshl_add_u64 v[68:69], s[12:13], 0, v[32:33]
	v_lshl_add_u64 v[70:71], s[12:13], 0, v[40:41]
	v_lshl_add_u64 v[54:55], s[12:13], 0, v[34:35]
	global_load_dword v61, v[60:61], off
	s_nop 0
	global_load_dword v60, v[62:63], off
	s_nop 0
	global_load_dword v63, v[66:67], off
	s_nop 0
	global_load_dword v66, v[68:69], off
	global_load_dword v67, v[70:71], off
	s_nop 0
	global_load_dword v49, v[48:49], off
	s_nop 0
	global_load_dword v48, v[54:55], off
	global_load_dword v62, v[64:65], off
	s_add_i32 s7, s7, -1
	s_add_u32 s12, s12, s10
	s_addc_u32 s13, s13, s11
	s_cmp_lg_u32 s7, 0
	s_waitcnt vmcnt(8)
	v_pk_mul_f32 v[54:55], v[6:7], v[56:57]
	s_nop 0
	v_pk_fma_f32 v[50:51], v[6:7], v[50:51], v[54:55] op_sel:[0,0,1] op_sel_hi:[1,1,0]
	s_waitcnt vmcnt(6)
	v_pk_mul_f32 v[56:57], v[6:7], v[60:61]
	v_pk_fma_f32 v[50:51], v[0:1], v[52:53], v[50:51]
	s_waitcnt vmcnt(0)
	v_pk_fma_f32 v[54:55], v[6:7], v[62:63], v[56:57] op_sel:[0,0,1] op_sel_hi:[1,1,0]
	s_nop 0
	v_pk_fma_f32 v[52:53], v[0:1], v[66:67], v[54:55]
	v_pk_fma_f32 v[50:51], v[2:3], v[58:59], v[50:51]
	;; [unrolled: 1-line block ×3, first 2 shown]
	v_pk_mul_f32 v[50:51], v[4:5], v[50:51]
	v_pk_mul_f32 v[48:49], v[8:9], v[48:49]
	v_add_f32_e32 v50, v50, v51
	v_add_f32_e32 v48, v48, v50
	v_add_f32_e32 v48, v49, v48
	global_store_dword v[44:45], v48, off
	v_lshl_add_u64 v[44:45], v[44:45], 0, s[22:23]
	s_cbranch_scc1 .LBB3_6
	s_branch .LBB3_4
.LBB3_7:
	s_mov_b64 s[16:17], 0
.LBB3_8:
	s_andn2_b64 vcc, exec, s[16:17]
	s_cbranch_vccnz .LBB3_14
; %bb.9:
	s_andn2_b64 vcc, exec, s[2:3]
	s_cbranch_vccnz .LBB3_14
; %bb.10:
	s_load_dwordx8 s[8:15], s[0:1], 0x38
	s_load_dwordx2 s[2:3], s[0:1], 0x58
	s_load_dwordx2 s[16:17], s[0:1], 0x10
	v_ashrrev_i32_e32 v4, 31, v47
	v_ashrrev_i32_e32 v5, 31, v46
	s_cmp_gt_i32 s6, 0
	s_waitcnt lgkmcnt(0)
	v_mul_lo_u32 v2, s13, v47
	v_mul_lo_u32 v3, s12, v4
	v_mad_u64_u32 v[0:1], s[12:13], s12, v47, 0
	v_add3_u32 v1, v1, v3, v2
	v_lshl_add_u64 v[0:1], v[0:1], 2, s[16:17]
	s_load_dwordx8 s[16:23], s[0:1], 0x80
	v_mul_lo_u32 v6, s15, v46
	v_mul_lo_u32 v7, s14, v5
	v_mad_u64_u32 v[2:3], s[0:1], s14, v46, 0
	v_add3_u32 v3, v3, v7, v6
	v_lshl_add_u64 v[0:1], v[2:3], 2, v[0:1]
	s_waitcnt lgkmcnt(0)
	v_mul_lo_u32 v6, s21, v47
	v_mul_lo_u32 v4, s20, v4
	v_mad_u64_u32 v[2:3], s[0:1], s20, v47, 0
	v_add3_u32 v3, v3, v4, v6
	v_mul_lo_u32 v6, s23, v46
	v_mul_lo_u32 v7, s22, v5
	v_mad_u64_u32 v[4:5], s[0:1], s22, v46, 0
	s_cselect_b64 s[24:25], -1, 0
	v_lshl_add_u64 v[2:3], v[2:3], 2, s[2:3]
	v_add3_u32 v5, v5, v7, v6
	v_lshl_add_u64 v[2:3], v[4:5], 2, v[2:3]
	v_cndmask_b32_e64 v4, 0, 1, s[24:25]
	s_mov_b32 s5, 0
	s_lshl_b64 s[2:3], s[16:17], 2
	s_lshl_b64 s[12:13], s[18:19], 2
	;; [unrolled: 1-line block ×4, first 2 shown]
	v_cmp_ne_u32_e64 s[0:1], 1, v4
	s_branch .LBB3_12
.LBB3_11:                               ;   in Loop: Header=BB3_12 Depth=1
	s_add_i32 s5, s5, 1
	v_lshl_add_u64 v[2:3], v[2:3], 0, s[2:3]
	s_cmp_eq_u32 s5, s4
	v_lshl_add_u64 v[0:1], v[0:1], 0, s[8:9]
	s_cbranch_scc1 .LBB3_14
.LBB3_12:                               ; =>This Loop Header: Depth=1
                                        ;     Child Loop BB3_13 Depth 2
	s_and_b64 vcc, exec, s[0:1]
	v_mov_b64_e32 v[4:5], v[0:1]
	v_mov_b64_e32 v[6:7], v[2:3]
	s_mov_b32 s7, s6
	s_cbranch_vccnz .LBB3_11
.LBB3_13:                               ;   Parent Loop BB3_12 Depth=1
                                        ; =>  This Inner Loop Header: Depth=2
	global_load_dword v8, v[4:5], off
	s_add_i32 s7, s7, -1
	v_lshl_add_u64 v[4:5], v[4:5], 0, s[10:11]
	s_cmp_eq_u32 s7, 0
	s_waitcnt vmcnt(0)
	global_store_dword v[6:7], v8, off
	v_lshl_add_u64 v[6:7], v[6:7], 0, s[12:13]
	s_cbranch_scc0 .LBB3_13
	s_branch .LBB3_11
.LBB3_14:
	s_endpgm
	.section	.rodata,"a",@progbits
	.p2align	6, 0x0
	.amdhsa_kernel _ZN2at6native12_GLOBAL__N_128upsample_bicubic2d_out_frameIffEEviT0_S3_bN5torch10headeronly6detail27GenericPackedTensorAccessorINS6_14TensorAccessorIN3c108ArrayRefIlEEKT_Lm3ENS5_16DefaultPtrTraitsElEENS_6detail16IndexBoundsCheckILm4ElEESD_Lm4ESE_lEENS7_INS8_ISB_SC_Lm3ESE_lEESI_SC_Lm4ESE_lEE
		.amdhsa_group_segment_fixed_size 0
		.amdhsa_private_segment_fixed_size 0
		.amdhsa_kernarg_size 416
		.amdhsa_user_sgpr_count 2
		.amdhsa_user_sgpr_dispatch_ptr 0
		.amdhsa_user_sgpr_queue_ptr 0
		.amdhsa_user_sgpr_kernarg_segment_ptr 1
		.amdhsa_user_sgpr_dispatch_id 0
		.amdhsa_user_sgpr_kernarg_preload_length 0
		.amdhsa_user_sgpr_kernarg_preload_offset 0
		.amdhsa_user_sgpr_private_segment_size 0
		.amdhsa_uses_dynamic_stack 0
		.amdhsa_enable_private_segment 0
		.amdhsa_system_sgpr_workgroup_id_x 1
		.amdhsa_system_sgpr_workgroup_id_y 0
		.amdhsa_system_sgpr_workgroup_id_z 0
		.amdhsa_system_sgpr_workgroup_info 0
		.amdhsa_system_vgpr_workitem_id 0
		.amdhsa_next_free_vgpr 72
		.amdhsa_next_free_sgpr 32
		.amdhsa_accum_offset 72
		.amdhsa_reserve_vcc 1
		.amdhsa_float_round_mode_32 0
		.amdhsa_float_round_mode_16_64 0
		.amdhsa_float_denorm_mode_32 3
		.amdhsa_float_denorm_mode_16_64 3
		.amdhsa_dx10_clamp 1
		.amdhsa_ieee_mode 1
		.amdhsa_fp16_overflow 0
		.amdhsa_tg_split 0
		.amdhsa_exception_fp_ieee_invalid_op 0
		.amdhsa_exception_fp_denorm_src 0
		.amdhsa_exception_fp_ieee_div_zero 0
		.amdhsa_exception_fp_ieee_overflow 0
		.amdhsa_exception_fp_ieee_underflow 0
		.amdhsa_exception_fp_ieee_inexact 0
		.amdhsa_exception_int_div_zero 0
	.end_amdhsa_kernel
	.section	.text._ZN2at6native12_GLOBAL__N_128upsample_bicubic2d_out_frameIffEEviT0_S3_bN5torch10headeronly6detail27GenericPackedTensorAccessorINS6_14TensorAccessorIN3c108ArrayRefIlEEKT_Lm3ENS5_16DefaultPtrTraitsElEENS_6detail16IndexBoundsCheckILm4ElEESD_Lm4ESE_lEENS7_INS8_ISB_SC_Lm3ESE_lEESI_SC_Lm4ESE_lEE,"axG",@progbits,_ZN2at6native12_GLOBAL__N_128upsample_bicubic2d_out_frameIffEEviT0_S3_bN5torch10headeronly6detail27GenericPackedTensorAccessorINS6_14TensorAccessorIN3c108ArrayRefIlEEKT_Lm3ENS5_16DefaultPtrTraitsElEENS_6detail16IndexBoundsCheckILm4ElEESD_Lm4ESE_lEENS7_INS8_ISB_SC_Lm3ESE_lEESI_SC_Lm4ESE_lEE,comdat
.Lfunc_end3:
	.size	_ZN2at6native12_GLOBAL__N_128upsample_bicubic2d_out_frameIffEEviT0_S3_bN5torch10headeronly6detail27GenericPackedTensorAccessorINS6_14TensorAccessorIN3c108ArrayRefIlEEKT_Lm3ENS5_16DefaultPtrTraitsElEENS_6detail16IndexBoundsCheckILm4ElEESD_Lm4ESE_lEENS7_INS8_ISB_SC_Lm3ESE_lEESI_SC_Lm4ESE_lEE, .Lfunc_end3-_ZN2at6native12_GLOBAL__N_128upsample_bicubic2d_out_frameIffEEviT0_S3_bN5torch10headeronly6detail27GenericPackedTensorAccessorINS6_14TensorAccessorIN3c108ArrayRefIlEEKT_Lm3ENS5_16DefaultPtrTraitsElEENS_6detail16IndexBoundsCheckILm4ElEESD_Lm4ESE_lEENS7_INS8_ISB_SC_Lm3ESE_lEESI_SC_Lm4ESE_lEE
                                        ; -- End function
	.set _ZN2at6native12_GLOBAL__N_128upsample_bicubic2d_out_frameIffEEviT0_S3_bN5torch10headeronly6detail27GenericPackedTensorAccessorINS6_14TensorAccessorIN3c108ArrayRefIlEEKT_Lm3ENS5_16DefaultPtrTraitsElEENS_6detail16IndexBoundsCheckILm4ElEESD_Lm4ESE_lEENS7_INS8_ISB_SC_Lm3ESE_lEESI_SC_Lm4ESE_lEE.num_vgpr, 72
	.set _ZN2at6native12_GLOBAL__N_128upsample_bicubic2d_out_frameIffEEviT0_S3_bN5torch10headeronly6detail27GenericPackedTensorAccessorINS6_14TensorAccessorIN3c108ArrayRefIlEEKT_Lm3ENS5_16DefaultPtrTraitsElEENS_6detail16IndexBoundsCheckILm4ElEESD_Lm4ESE_lEENS7_INS8_ISB_SC_Lm3ESE_lEESI_SC_Lm4ESE_lEE.num_agpr, 0
	.set _ZN2at6native12_GLOBAL__N_128upsample_bicubic2d_out_frameIffEEviT0_S3_bN5torch10headeronly6detail27GenericPackedTensorAccessorINS6_14TensorAccessorIN3c108ArrayRefIlEEKT_Lm3ENS5_16DefaultPtrTraitsElEENS_6detail16IndexBoundsCheckILm4ElEESD_Lm4ESE_lEENS7_INS8_ISB_SC_Lm3ESE_lEESI_SC_Lm4ESE_lEE.numbered_sgpr, 32
	.set _ZN2at6native12_GLOBAL__N_128upsample_bicubic2d_out_frameIffEEviT0_S3_bN5torch10headeronly6detail27GenericPackedTensorAccessorINS6_14TensorAccessorIN3c108ArrayRefIlEEKT_Lm3ENS5_16DefaultPtrTraitsElEENS_6detail16IndexBoundsCheckILm4ElEESD_Lm4ESE_lEENS7_INS8_ISB_SC_Lm3ESE_lEESI_SC_Lm4ESE_lEE.num_named_barrier, 0
	.set _ZN2at6native12_GLOBAL__N_128upsample_bicubic2d_out_frameIffEEviT0_S3_bN5torch10headeronly6detail27GenericPackedTensorAccessorINS6_14TensorAccessorIN3c108ArrayRefIlEEKT_Lm3ENS5_16DefaultPtrTraitsElEENS_6detail16IndexBoundsCheckILm4ElEESD_Lm4ESE_lEENS7_INS8_ISB_SC_Lm3ESE_lEESI_SC_Lm4ESE_lEE.private_seg_size, 0
	.set _ZN2at6native12_GLOBAL__N_128upsample_bicubic2d_out_frameIffEEviT0_S3_bN5torch10headeronly6detail27GenericPackedTensorAccessorINS6_14TensorAccessorIN3c108ArrayRefIlEEKT_Lm3ENS5_16DefaultPtrTraitsElEENS_6detail16IndexBoundsCheckILm4ElEESD_Lm4ESE_lEENS7_INS8_ISB_SC_Lm3ESE_lEESI_SC_Lm4ESE_lEE.uses_vcc, 1
	.set _ZN2at6native12_GLOBAL__N_128upsample_bicubic2d_out_frameIffEEviT0_S3_bN5torch10headeronly6detail27GenericPackedTensorAccessorINS6_14TensorAccessorIN3c108ArrayRefIlEEKT_Lm3ENS5_16DefaultPtrTraitsElEENS_6detail16IndexBoundsCheckILm4ElEESD_Lm4ESE_lEENS7_INS8_ISB_SC_Lm3ESE_lEESI_SC_Lm4ESE_lEE.uses_flat_scratch, 0
	.set _ZN2at6native12_GLOBAL__N_128upsample_bicubic2d_out_frameIffEEviT0_S3_bN5torch10headeronly6detail27GenericPackedTensorAccessorINS6_14TensorAccessorIN3c108ArrayRefIlEEKT_Lm3ENS5_16DefaultPtrTraitsElEENS_6detail16IndexBoundsCheckILm4ElEESD_Lm4ESE_lEENS7_INS8_ISB_SC_Lm3ESE_lEESI_SC_Lm4ESE_lEE.has_dyn_sized_stack, 0
	.set _ZN2at6native12_GLOBAL__N_128upsample_bicubic2d_out_frameIffEEviT0_S3_bN5torch10headeronly6detail27GenericPackedTensorAccessorINS6_14TensorAccessorIN3c108ArrayRefIlEEKT_Lm3ENS5_16DefaultPtrTraitsElEENS_6detail16IndexBoundsCheckILm4ElEESD_Lm4ESE_lEENS7_INS8_ISB_SC_Lm3ESE_lEESI_SC_Lm4ESE_lEE.has_recursion, 0
	.set _ZN2at6native12_GLOBAL__N_128upsample_bicubic2d_out_frameIffEEviT0_S3_bN5torch10headeronly6detail27GenericPackedTensorAccessorINS6_14TensorAccessorIN3c108ArrayRefIlEEKT_Lm3ENS5_16DefaultPtrTraitsElEENS_6detail16IndexBoundsCheckILm4ElEESD_Lm4ESE_lEENS7_INS8_ISB_SC_Lm3ESE_lEESI_SC_Lm4ESE_lEE.has_indirect_call, 0
	.section	.AMDGPU.csdata,"",@progbits
; Kernel info:
; codeLenInByte = 2088
; TotalNumSgprs: 38
; NumVgprs: 72
; NumAgprs: 0
; TotalNumVgprs: 72
; ScratchSize: 0
; MemoryBound: 0
; FloatMode: 240
; IeeeMode: 1
; LDSByteSize: 0 bytes/workgroup (compile time only)
; SGPRBlocks: 4
; VGPRBlocks: 8
; NumSGPRsForWavesPerEU: 38
; NumVGPRsForWavesPerEU: 72
; AccumOffset: 72
; Occupancy: 7
; WaveLimiterHint : 1
; COMPUTE_PGM_RSRC2:SCRATCH_EN: 0
; COMPUTE_PGM_RSRC2:USER_SGPR: 2
; COMPUTE_PGM_RSRC2:TRAP_HANDLER: 0
; COMPUTE_PGM_RSRC2:TGID_X_EN: 1
; COMPUTE_PGM_RSRC2:TGID_Y_EN: 0
; COMPUTE_PGM_RSRC2:TGID_Z_EN: 0
; COMPUTE_PGM_RSRC2:TIDIG_COMP_CNT: 0
; COMPUTE_PGM_RSRC3_GFX90A:ACCUM_OFFSET: 17
; COMPUTE_PGM_RSRC3_GFX90A:TG_SPLIT: 0
	.section	.text._ZN2at6native12_GLOBAL__N_137upsample_bicubic2d_out_frame_parallelIN3c104HalfEfEEviT0_S5_bN5torch10headeronly6detail27GenericPackedTensorAccessorINS8_14TensorAccessorINS3_8ArrayRefIlEEKT_Lm3ENS7_16DefaultPtrTraitsElEENS_6detail16IndexBoundsCheckILm4ElEESE_Lm4ESF_lEENS9_INSA_ISC_SD_Lm3ESF_lEESJ_SD_Lm4ESF_lEE,"axG",@progbits,_ZN2at6native12_GLOBAL__N_137upsample_bicubic2d_out_frame_parallelIN3c104HalfEfEEviT0_S5_bN5torch10headeronly6detail27GenericPackedTensorAccessorINS8_14TensorAccessorINS3_8ArrayRefIlEEKT_Lm3ENS7_16DefaultPtrTraitsElEENS_6detail16IndexBoundsCheckILm4ElEESE_Lm4ESF_lEENS9_INSA_ISC_SD_Lm3ESF_lEESJ_SD_Lm4ESF_lEE,comdat
	.globl	_ZN2at6native12_GLOBAL__N_137upsample_bicubic2d_out_frame_parallelIN3c104HalfEfEEviT0_S5_bN5torch10headeronly6detail27GenericPackedTensorAccessorINS8_14TensorAccessorINS3_8ArrayRefIlEEKT_Lm3ENS7_16DefaultPtrTraitsElEENS_6detail16IndexBoundsCheckILm4ElEESE_Lm4ESF_lEENS9_INSA_ISC_SD_Lm3ESF_lEESJ_SD_Lm4ESF_lEE ; -- Begin function _ZN2at6native12_GLOBAL__N_137upsample_bicubic2d_out_frame_parallelIN3c104HalfEfEEviT0_S5_bN5torch10headeronly6detail27GenericPackedTensorAccessorINS8_14TensorAccessorINS3_8ArrayRefIlEEKT_Lm3ENS7_16DefaultPtrTraitsElEENS_6detail16IndexBoundsCheckILm4ElEESE_Lm4ESF_lEENS9_INSA_ISC_SD_Lm3ESF_lEESJ_SD_Lm4ESF_lEE
	.p2align	8
	.type	_ZN2at6native12_GLOBAL__N_137upsample_bicubic2d_out_frame_parallelIN3c104HalfEfEEviT0_S5_bN5torch10headeronly6detail27GenericPackedTensorAccessorINS8_14TensorAccessorINS3_8ArrayRefIlEEKT_Lm3ENS7_16DefaultPtrTraitsElEENS_6detail16IndexBoundsCheckILm4ElEESE_Lm4ESF_lEENS9_INSA_ISC_SD_Lm3ESF_lEESJ_SD_Lm4ESF_lEE,@function
_ZN2at6native12_GLOBAL__N_137upsample_bicubic2d_out_frame_parallelIN3c104HalfEfEEviT0_S5_bN5torch10headeronly6detail27GenericPackedTensorAccessorINS8_14TensorAccessorINS3_8ArrayRefIlEEKT_Lm3ENS7_16DefaultPtrTraitsElEENS_6detail16IndexBoundsCheckILm4ElEESE_Lm4ESF_lEENS9_INSA_ISC_SD_Lm3ESF_lEESJ_SD_Lm4ESF_lEE: ; @_ZN2at6native12_GLOBAL__N_137upsample_bicubic2d_out_frame_parallelIN3c104HalfEfEEviT0_S5_bN5torch10headeronly6detail27GenericPackedTensorAccessorINS8_14TensorAccessorINS3_8ArrayRefIlEEKT_Lm3ENS7_16DefaultPtrTraitsElEENS_6detail16IndexBoundsCheckILm4ElEESE_Lm4ESF_lEENS9_INSA_ISC_SD_Lm3ESF_lEESJ_SD_Lm4ESF_lEE
; %bb.0:
	s_load_dword s4, s[0:1], 0xac
	s_load_dwordx4 s[8:11], s[0:1], 0x0
	s_add_u32 s28, s0, 0xa0
	s_addc_u32 s29, s1, 0
	s_waitcnt lgkmcnt(0)
	s_and_b32 s4, s4, 0xffff
	s_mul_i32 s2, s2, s4
	v_add_u32_e32 v0, s2, v0
	v_cmp_gt_i32_e32 vcc, s8, v0
	s_and_saveexec_b64 s[4:5], vcc
	s_cbranch_execz .LBB4_10
; %bb.1:
	s_load_dwordx4 s[4:7], s[0:1], 0x70
	v_sub_u32_e32 v2, 0, v0
	v_max_i32_e32 v2, v0, v2
	s_load_dword s12, s[0:1], 0x18
	s_load_dwordx4 s[24:27], s[0:1], 0x20
	s_load_dword s8, s[0:1], 0x30
	s_waitcnt lgkmcnt(0)
	s_abs_i32 s2, s6
	v_cvt_f32_u32_e32 v1, s2
	s_sub_i32 s5, 0, s2
	v_xor_b32_e32 v3, s6, v0
	v_ashrrev_i32_e32 v3, 31, v3
	v_rcp_iflag_f32_e32 v1, v1
	s_cmp_lg_u32 s26, s4
	v_mul_f32_e32 v1, 0x4f7ffffe, v1
	v_cvt_u32_f32_e32 v1, v1
	v_mul_lo_u32 v4, s5, v1
	v_mul_hi_u32 v4, v1, v4
	v_add_u32_e32 v1, v1, v4
	v_mul_hi_u32 v1, v2, v1
	v_mul_lo_u32 v4, v1, s2
	v_sub_u32_e32 v2, v2, v4
	v_add_u32_e32 v5, 1, v1
	v_cmp_le_u32_e32 vcc, s2, v2
	v_subrev_u32_e32 v4, s2, v2
	s_cselect_b64 s[4:5], -1, 0
	v_cndmask_b32_e32 v1, v1, v5, vcc
	v_cndmask_b32_e32 v2, v2, v4, vcc
	v_add_u32_e32 v4, 1, v1
	v_cmp_le_u32_e32 vcc, s2, v2
	s_cmp_lg_u32 s8, s6
	s_mul_i32 s2, s24, s12
	v_cndmask_b32_e32 v1, v1, v4, vcc
	v_xor_b32_e32 v1, v1, v3
	v_sub_u32_e32 v33, v1, v3
	v_mul_lo_u32 v1, v33, s6
	s_cselect_b64 s[6:7], -1, 0
	s_or_b64 s[4:5], s[6:7], s[4:5]
	s_cmp_lt_i32 s3, s2
	s_cselect_b64 s[12:13], -1, 0
	v_sub_u32_e32 v32, v0, v1
	v_cndmask_b32_e64 v0, 0, 1, s[12:13]
	s_mov_b64 s[6:7], -1
	s_and_b64 vcc, exec, s[4:5]
	v_cmp_ne_u32_e64 s[4:5], 1, v0
	s_cbranch_vccz .LBB4_6
; %bb.2:
	s_and_b64 vcc, exec, s[4:5]
	s_cbranch_vccnz .LBB4_5
; %bb.3:
	v_cvt_f32_i32_e32 v0, v33
	s_bitcmp1_b32 s11, 0
	v_cvt_f32_i32_e32 v1, v32
	s_cselect_b64 vcc, -1, 0
	v_mul_f32_e32 v2, s9, v0
	v_add_f32_e32 v0, 0.5, v0
	v_fma_f32 v0, s9, v0, -0.5
	v_cndmask_b32_e32 v0, v0, v2, vcc
	v_floor_f32_e32 v2, v0
	v_cvt_i32_f32_e32 v3, v2
	v_mul_f32_e32 v2, s10, v1
	v_add_f32_e32 v1, 0.5, v1
	v_fma_f32 v1, s10, v1, -0.5
	v_cndmask_b32_e32 v1, v1, v2, vcc
	v_floor_f32_e32 v2, v1
	v_cvt_i32_f32_e32 v2, v2
	v_cvt_f32_i32_e32 v4, v3
	s_add_i32 s18, s8, -1
	s_load_dwordx8 s[8:15], s[0:1], 0x38
	v_cvt_f32_i32_e32 v5, v2
	v_sub_f32_e32 v8, v0, v4
	v_add_u32_e32 v0, -1, v2
	v_min_i32_e32 v0, s18, v0
	v_sub_f32_e32 v7, v1, v5
	v_max_i32_e32 v1, 0, v0
	s_waitcnt lgkmcnt(0)
	v_mad_u64_u32 v[24:25], s[16:17], s14, v1, 0
	v_mov_b32_e32 v0, v25
	v_mad_u64_u32 v[0:1], s[16:17], s15, v1, v[0:1]
	v_mov_b32_e32 v25, v0
	v_min_i32_e32 v0, s18, v2
	v_max_i32_e32 v1, 0, v0
	v_mad_u64_u32 v[26:27], s[16:17], s14, v1, 0
	v_mov_b32_e32 v0, v27
	v_mad_u64_u32 v[0:1], s[16:17], s15, v1, v[0:1]
	v_mov_b32_e32 v27, v0
	v_add_u32_e32 v0, 1, v2
	v_min_i32_e32 v0, s18, v0
	v_max_i32_e32 v1, 0, v0
	v_mad_u64_u32 v[28:29], s[16:17], s14, v1, 0
	v_mov_b32_e32 v0, v29
	v_mad_u64_u32 v[0:1], s[16:17], s15, v1, v[0:1]
	v_mov_b32_e32 v29, v0
	v_add_u32_e32 v0, 2, v2
	v_min_i32_e32 v0, s18, v0
	v_max_i32_e32 v1, 0, v0
	v_mad_u64_u32 v[30:31], s[16:17], s14, v1, 0
	v_mov_b32_e32 v0, v31
	v_mad_u64_u32 v[0:1], s[14:15], s15, v1, v[0:1]
	v_add_f32_e32 v10, 1.0, v7
	v_mov_b32_e32 v1, 0x40700000
	v_mov_b32_e32 v31, v0
	v_fmamk_f32 v0, v10, 0xbf400000, v1
	v_mov_b32_e32 v15, 0xc0100000
	v_fmaak_f32 v6, v10, v0, 0xc0c00000
	v_fmamk_f32 v0, v7, 0x3fa00000, v15
	v_sub_f32_e32 v2, 1.0, v7
	v_mul_f32_e32 v11, v7, v0
	v_fmamk_f32 v0, v2, 0x3fa00000, v15
	v_mul_f32_e32 v0, v2, v0
	v_add_f32_e32 v4, 1.0, v2
	v_fma_f32 v0, v2, v0, 1.0
	v_fmamk_f32 v2, v4, 0xbf400000, v1
	s_mov_b32 s14, 1.0
	v_fmaak_f32 v5, v4, v2, 0xc0c00000
	v_mov_b32_e32 v2, 0x40400000
	s_mov_b32 s15, 0x40400000
	v_fmac_f32_e32 v2, v4, v5
	v_add_f32_e32 v5, 1.0, v8
	v_fmamk_f32 v4, v5, 0xbf400000, v1
	s_mov_b32 s16, s15
	s_mov_b32 s17, s14
	v_fmaak_f32 v9, v5, v4, 0xc0c00000
	v_fmamk_f32 v4, v8, 0x3fa00000, v15
	v_pk_fma_f32 v[6:7], v[6:7], v[10:11], s[16:17]
	s_load_dwordx8 s[16:23], s[0:1], 0x80
	v_mul_f32_e32 v4, v8, v4
	v_sub_f32_e32 v12, 1.0, v8
	v_pk_fma_f32 v[4:5], v[8:9], v[4:5], s[14:15]
	v_add_f32_e32 v9, 1.0, v12
	v_mov_b32_e32 v13, 0xc0c00000
	v_fmac_f32_e32 v15, 0x3fa00000, v12
	v_fmac_f32_e32 v1, 0xbf400000, v9
	v_mul_f32_e32 v8, v12, v15
	v_fmac_f32_e32 v13, v9, v1
	v_ashrrev_i32_e32 v1, 31, v33
	v_pk_fma_f32 v[8:9], v[8:9], v[12:13], s[14:15]
	s_waitcnt lgkmcnt(0)
	v_mul_lo_u32 v12, s21, v33
	v_mul_lo_u32 v1, s20, v1
	v_mad_u64_u32 v[10:11], s[14:15], s20, v33, 0
	v_add3_u32 v11, v11, v1, v12
	v_ashrrev_i32_e32 v1, 31, v32
	v_add_u32_e32 v14, -1, v3
	s_add_i32 s25, s26, -1
	v_mul_lo_u32 v15, s23, v32
	v_mul_lo_u32 v1, s22, v1
	v_mad_u64_u32 v[12:13], s[14:15], s22, v32, 0
	v_add3_u32 v13, v13, v1, v15
	v_min_i32_e32 v1, s25, v14
	v_max_i32_e32 v1, 0, v1
	v_mad_u64_u32 v[14:15], s[20:21], s12, v1, 0
	v_mov_b32_e32 v16, v15
	v_mad_u64_u32 v[16:17], s[20:21], s13, v1, v[16:17]
	v_min_i32_e32 v1, s25, v3
	v_max_i32_e32 v1, 0, v1
	v_mov_b32_e32 v15, v16
	v_mad_u64_u32 v[16:17], s[20:21], s12, v1, 0
	v_mov_b32_e32 v18, v17
	v_mad_u64_u32 v[18:19], s[20:21], s13, v1, v[18:19]
	v_add_u32_e32 v1, 1, v3
	v_min_i32_e32 v1, s25, v1
	v_max_i32_e32 v1, 0, v1
	v_mov_b32_e32 v17, v18
	v_mad_u64_u32 v[18:19], s[20:21], s12, v1, 0
	v_mov_b32_e32 v20, v19
	v_mad_u64_u32 v[20:21], s[20:21], s13, v1, v[20:21]
	v_add_u32_e32 v1, 2, v3
	v_min_i32_e32 v1, s25, v1
	v_max_i32_e32 v1, 0, v1
	v_mov_b32_e32 v19, v20
	v_mad_u64_u32 v[20:21], s[20:21], s12, v1, 0
	s_abs_i32 s12, s24
	v_cvt_f32_u32_e32 v3, s12
	v_mov_b32_e32 v22, v21
	v_mad_u64_u32 v[22:23], s[20:21], s13, v1, v[22:23]
	v_rcp_iflag_f32_e32 v23, v3
	v_mov_b32_e32 v21, v22
	s_load_dwordx2 s[6:7], s[0:1], 0x10
	s_load_dwordx2 s[26:27], s[0:1], 0x58
	s_load_dword s14, s[28:29], 0x8
	v_mul_f32_e32 v22, 0x4f7ffffe, v23
	v_cvt_u32_f32_e32 v34, v22
	s_sub_i32 s15, 0, s12
	v_mov_b32_e32 v3, v2
	v_mov_b32_e32 v1, v0
	v_readfirstlane_b32 s20, v34
	s_mul_i32 s15, s15, s20
	s_mul_hi_u32 s15, s20, s15
	v_pk_mov_b32 v[22:23], v[6:7], v[6:7] op_sel:[1,0]
	s_ashr_i32 s13, s24, 31
	s_add_i32 s15, s20, s15
	s_sub_i32 s20, 0, s24
	v_lshlrev_b64 v[24:25], 1, v[24:25]
	v_lshlrev_b64 v[26:27], 1, v[26:27]
	;; [unrolled: 1-line block ×4, first 2 shown]
	s_mov_b32 s21, s3
.LBB4_4:                                ; =>This Inner Loop Header: Depth=1
	s_abs_i32 s23, s21
	s_mul_hi_u32 s25, s23, s15
	s_mul_i32 s30, s25, s12
	s_ashr_i32 s22, s21, 31
	s_sub_i32 s23, s23, s30
	s_xor_b32 s22, s22, s13
	s_add_i32 s31, s25, 1
	s_sub_i32 s30, s23, s12
	s_cmp_ge_u32 s23, s12
	s_cselect_b32 s25, s31, s25
	s_cselect_b32 s23, s30, s23
	s_add_i32 s30, s25, 1
	s_cmp_ge_u32 s23, s12
	s_cselect_b32 s23, s30, s25
	s_xor_b32 s23, s23, s22
	s_sub_i32 s25, s23, s22
	s_mul_i32 s23, s20, s25
	s_ashr_i32 s33, s25, 31
	s_mul_hi_u32 s30, s8, s25
	s_add_i32 s34, s21, s23
	s_mul_i32 s23, s8, s33
	s_mul_i32 s31, s9, s25
	s_add_i32 s23, s30, s23
	s_mul_i32 s22, s8, s25
	s_add_i32 s23, s23, s31
	s_lshl_b64 s[22:23], s[22:23], 1
	s_waitcnt lgkmcnt(0)
	s_add_u32 s37, s6, s22
	s_addc_u32 s38, s7, s23
	s_ashr_i32 s39, s34, 31
	s_mul_hi_u32 s35, s10, s34
	s_mul_i32 s22, s10, s39
	s_mul_i32 s36, s11, s34
	s_add_i32 s22, s35, s22
	s_mul_i32 s30, s10, s34
	s_add_i32 s31, s22, s36
	s_lshl_b64 s[22:23], s[30:31], 1
	s_add_u32 s22, s37, s22
	s_addc_u32 s23, s38, s23
	v_lshl_add_u64 v[34:35], v[14:15], 1, s[22:23]
	v_lshl_add_u64 v[36:37], v[16:17], 1, s[22:23]
	;; [unrolled: 1-line block ×6, first 2 shown]
	global_load_ushort v62, v[42:43], off
	global_load_ushort v63, v[44:45], off
	;; [unrolled: 1-line block ×4, first 2 shown]
	v_lshl_add_u64 v[38:39], v[18:19], 1, s[22:23]
	v_lshl_add_u64 v[40:41], v[20:21], 1, s[22:23]
	;; [unrolled: 1-line block ×14, first 2 shown]
	global_load_ushort v46, v[50:51], off
	global_load_ushort v47, v[34:35], off
                                        ; kill: killed $vgpr50_vgpr51
                                        ; kill: killed $vgpr34_vgpr35
	global_load_ushort v48, v[52:53], off
	global_load_ushort v49, v[36:37], off
	s_nop 0
	global_load_ushort v50, v[54:55], off
	global_load_ushort v51, v[60:61], off
                                        ; kill: killed $vgpr60_vgpr61
                                        ; kill: killed $vgpr36_vgpr37
                                        ; kill: killed $vgpr52_vgpr53
                                        ; kill: killed $vgpr54_vgpr55
	global_load_ushort v52, v[56:57], off
	global_load_ushort v53, v[42:43], off
	s_nop 0
	global_load_ushort v54, v[58:59], off
	global_load_ushort v55, v[44:45], off
	;; [unrolled: 1-line block ×4, first 2 shown]
	s_mul_hi_u32 s23, s16, s25
	s_mul_i32 s31, s17, s25
	s_mul_i32 s22, s16, s25
	;; [unrolled: 1-line block ×3, first 2 shown]
	s_add_i32 s23, s23, s25
	s_add_i32 s23, s23, s31
	s_lshl_b64 s[22:23], s[22:23], 1
	s_mul_hi_u32 s33, s18, s34
	s_mul_i32 s35, s19, s34
	s_mul_i32 s30, s18, s34
	;; [unrolled: 1-line block ×3, first 2 shown]
	s_add_u32 s25, s26, s22
	s_addc_u32 s36, s27, s23
	s_add_i32 s22, s33, s34
	s_add_i32 s31, s22, s35
	s_lshl_b64 s[22:23], s[30:31], 1
	s_add_u32 s22, s25, s22
	s_addc_u32 s23, s36, s23
	s_add_i32 s21, s21, s14
	s_cmp_lt_i32 s21, s2
	s_waitcnt vmcnt(11)
	v_cvt_f32_f16_e32 v36, v46
	v_cvt_f32_f16_e32 v35, v63
	;; [unrolled: 1-line block ×5, first 2 shown]
	s_waitcnt vmcnt(9)
	v_cvt_f32_f16_e32 v38, v48
	s_waitcnt vmcnt(7)
	v_cvt_f32_f16_e32 v44, v50
	;; [unrolled: 2-line block ×3, first 2 shown]
	v_cvt_f32_f16_e32 v41, v47
	v_cvt_f32_f16_e32 v40, v49
	v_pk_mul_f32 v[34:35], v[6:7], v[34:35]
	s_waitcnt vmcnt(5)
	v_cvt_f32_f16_e32 v42, v52
	s_waitcnt vmcnt(4)
	v_cvt_f32_f16_e32 v45, v53
	s_waitcnt vmcnt(3)
	v_cvt_f32_f16_e32 v46, v54
	s_waitcnt vmcnt(2)
	v_cvt_f32_f16_e32 v47, v55
	s_waitcnt vmcnt(1)
	v_cvt_f32_f16_e32 v48, v60
	s_waitcnt vmcnt(0)
	v_cvt_f32_f16_e32 v49, v61
	v_pk_mul_f32 v[42:43], v[22:23], v[42:43]
	v_pk_fma_f32 v[34:35], v[22:23], v[36:37], v[34:35]
	v_pk_fma_f32 v[36:37], v[6:7], v[44:45], v[42:43]
	;; [unrolled: 1-line block ×6, first 2 shown]
	v_pk_mul_f32 v[34:35], v[4:5], v[34:35]
	v_pk_mul_f32 v[36:37], v[8:9], v[36:37]
	v_add_f32_e32 v34, v34, v35
	v_add_f32_e32 v34, v36, v34
	;; [unrolled: 1-line block ×3, first 2 shown]
	v_cvt_f16_f32_e32 v36, v34
	v_lshl_add_u64 v[34:35], v[10:11], 1, s[22:23]
	v_lshl_add_u64 v[34:35], v[12:13], 1, v[34:35]
	global_store_short v[34:35], v36, off
	s_cbranch_scc1 .LBB4_4
.LBB4_5:
	s_mov_b64 s[6:7], 0
.LBB4_6:
	s_andn2_b64 vcc, exec, s[6:7]
	s_cbranch_vccnz .LBB4_10
; %bb.7:
	s_and_b64 vcc, exec, s[4:5]
	s_cbranch_vccnz .LBB4_10
; %bb.8:
	s_load_dwordx8 s[4:11], s[0:1], 0x38
	s_load_dwordx2 s[20:21], s[0:1], 0x10
	s_load_dwordx2 s[22:23], s[0:1], 0x58
	s_load_dwordx8 s[12:19], s[0:1], 0x80
	v_ashrrev_i32_e32 v4, 31, v33
	s_waitcnt lgkmcnt(0)
	v_mul_lo_u32 v2, s9, v33
	v_mul_lo_u32 v3, s8, v4
	v_mad_u64_u32 v[0:1], s[8:9], s8, v33, 0
	v_ashrrev_i32_e32 v6, 31, v32
	v_add3_u32 v1, v1, v3, v2
	v_mul_lo_u32 v5, s11, v32
	v_mul_lo_u32 v7, s10, v6
	v_mad_u64_u32 v[2:3], s[0:1], s10, v32, 0
	v_add3_u32 v3, v3, v7, v5
	v_mul_lo_u32 v8, s16, v4
	v_mad_u64_u32 v[4:5], s[0:1], s16, v33, 0
	s_abs_i32 s0, s24
	s_nop 0
	v_cvt_f32_u32_e32 v9, s0
	v_mul_lo_u32 v7, s17, v33
	v_add3_u32 v5, v5, v8, v7
	v_mul_lo_u32 v8, s19, v32
	v_rcp_iflag_f32_e32 v9, v9
	v_mul_lo_u32 v10, s18, v6
	v_mad_u64_u32 v[6:7], s[8:9], s18, v32, 0
	v_add3_u32 v7, v7, v10, v8
	v_mul_f32_e32 v8, 0x4f7ffffe, v9
	v_cvt_u32_f32_e32 v8, v8
	s_load_dword s1, s[28:29], 0x8
	s_sub_i32 s9, 0, s0
	s_ashr_i32 s8, s24, 31
	v_readfirstlane_b32 s10, v8
	s_mul_i32 s9, s9, s10
	s_mul_hi_u32 s9, s10, s9
	s_add_i32 s9, s10, s9
	s_sub_i32 s10, 0, s24
.LBB4_9:                                ; =>This Inner Loop Header: Depth=1
	s_abs_i32 s16, s3
	s_mul_hi_u32 s17, s16, s9
	s_mul_i32 s18, s17, s0
	s_ashr_i32 s11, s3, 31
	s_sub_i32 s16, s16, s18
	s_xor_b32 s11, s11, s8
	s_add_i32 s19, s17, 1
	s_sub_i32 s18, s16, s0
	s_cmp_ge_u32 s16, s0
	s_cselect_b32 s17, s19, s17
	s_cselect_b32 s16, s18, s16
	s_add_i32 s18, s17, 1
	s_cmp_ge_u32 s16, s0
	s_cselect_b32 s16, s18, s17
	s_xor_b32 s16, s16, s11
	s_sub_i32 s11, s16, s11
	s_mul_i32 s17, s10, s11
	s_ashr_i32 s24, s11, 31
	s_mul_hi_u32 s18, s4, s11
	s_add_i32 s25, s3, s17
	s_mul_i32 s17, s4, s24
	s_mul_i32 s19, s5, s11
	s_add_i32 s17, s18, s17
	s_mul_i32 s16, s4, s11
	s_add_i32 s17, s17, s19
	s_lshl_b64 s[16:17], s[16:17], 1
	s_add_u32 s28, s20, s16
	s_addc_u32 s29, s21, s17
	s_ashr_i32 s30, s25, 31
	s_mul_hi_u32 s26, s6, s25
	s_mul_i32 s16, s6, s30
	s_mul_i32 s27, s7, s25
	s_add_i32 s16, s26, s16
	s_mul_i32 s18, s6, s25
	s_add_i32 s19, s16, s27
	s_lshl_b64 s[16:17], s[18:19], 1
	s_add_u32 s16, s28, s16
	s_addc_u32 s17, s29, s17
	v_lshl_add_u64 v[8:9], v[0:1], 1, s[16:17]
	v_lshl_add_u64 v[8:9], v[2:3], 1, v[8:9]
	global_load_ushort v10, v[8:9], off
	s_mul_hi_u32 s17, s12, s11
	s_mul_i32 s19, s13, s11
	s_mul_i32 s16, s12, s11
	s_mul_i32 s11, s12, s24
	s_add_i32 s11, s17, s11
	s_add_i32 s17, s11, s19
	s_lshl_b64 s[16:17], s[16:17], 1
	s_mul_hi_u32 s24, s14, s25
	s_mul_i32 s26, s15, s25
	s_mul_i32 s18, s14, s25
	s_mul_i32 s25, s14, s30
	s_add_u32 s11, s22, s16
	s_addc_u32 s27, s23, s17
	s_add_i32 s16, s24, s25
	s_add_i32 s19, s16, s26
	s_lshl_b64 s[16:17], s[18:19], 1
	s_add_u32 s16, s11, s16
	s_addc_u32 s17, s27, s17
	s_waitcnt lgkmcnt(0)
	s_add_i32 s3, s3, s1
	v_lshl_add_u64 v[8:9], v[4:5], 1, s[16:17]
	s_cmp_ge_i32 s3, s2
	v_lshl_add_u64 v[8:9], v[6:7], 1, v[8:9]
	s_waitcnt vmcnt(0)
	global_store_short v[8:9], v10, off
	s_cbranch_scc0 .LBB4_9
.LBB4_10:
	s_endpgm
	.section	.rodata,"a",@progbits
	.p2align	6, 0x0
	.amdhsa_kernel _ZN2at6native12_GLOBAL__N_137upsample_bicubic2d_out_frame_parallelIN3c104HalfEfEEviT0_S5_bN5torch10headeronly6detail27GenericPackedTensorAccessorINS8_14TensorAccessorINS3_8ArrayRefIlEEKT_Lm3ENS7_16DefaultPtrTraitsElEENS_6detail16IndexBoundsCheckILm4ElEESE_Lm4ESF_lEENS9_INSA_ISC_SD_Lm3ESF_lEESJ_SD_Lm4ESF_lEE
		.amdhsa_group_segment_fixed_size 0
		.amdhsa_private_segment_fixed_size 0
		.amdhsa_kernarg_size 416
		.amdhsa_user_sgpr_count 2
		.amdhsa_user_sgpr_dispatch_ptr 0
		.amdhsa_user_sgpr_queue_ptr 0
		.amdhsa_user_sgpr_kernarg_segment_ptr 1
		.amdhsa_user_sgpr_dispatch_id 0
		.amdhsa_user_sgpr_kernarg_preload_length 0
		.amdhsa_user_sgpr_kernarg_preload_offset 0
		.amdhsa_user_sgpr_private_segment_size 0
		.amdhsa_uses_dynamic_stack 0
		.amdhsa_enable_private_segment 0
		.amdhsa_system_sgpr_workgroup_id_x 1
		.amdhsa_system_sgpr_workgroup_id_y 0
		.amdhsa_system_sgpr_workgroup_id_z 1
		.amdhsa_system_sgpr_workgroup_info 0
		.amdhsa_system_vgpr_workitem_id 0
		.amdhsa_next_free_vgpr 66
		.amdhsa_next_free_sgpr 40
		.amdhsa_accum_offset 68
		.amdhsa_reserve_vcc 1
		.amdhsa_float_round_mode_32 0
		.amdhsa_float_round_mode_16_64 0
		.amdhsa_float_denorm_mode_32 3
		.amdhsa_float_denorm_mode_16_64 3
		.amdhsa_dx10_clamp 1
		.amdhsa_ieee_mode 1
		.amdhsa_fp16_overflow 0
		.amdhsa_tg_split 0
		.amdhsa_exception_fp_ieee_invalid_op 0
		.amdhsa_exception_fp_denorm_src 0
		.amdhsa_exception_fp_ieee_div_zero 0
		.amdhsa_exception_fp_ieee_overflow 0
		.amdhsa_exception_fp_ieee_underflow 0
		.amdhsa_exception_fp_ieee_inexact 0
		.amdhsa_exception_int_div_zero 0
	.end_amdhsa_kernel
	.section	.text._ZN2at6native12_GLOBAL__N_137upsample_bicubic2d_out_frame_parallelIN3c104HalfEfEEviT0_S5_bN5torch10headeronly6detail27GenericPackedTensorAccessorINS8_14TensorAccessorINS3_8ArrayRefIlEEKT_Lm3ENS7_16DefaultPtrTraitsElEENS_6detail16IndexBoundsCheckILm4ElEESE_Lm4ESF_lEENS9_INSA_ISC_SD_Lm3ESF_lEESJ_SD_Lm4ESF_lEE,"axG",@progbits,_ZN2at6native12_GLOBAL__N_137upsample_bicubic2d_out_frame_parallelIN3c104HalfEfEEviT0_S5_bN5torch10headeronly6detail27GenericPackedTensorAccessorINS8_14TensorAccessorINS3_8ArrayRefIlEEKT_Lm3ENS7_16DefaultPtrTraitsElEENS_6detail16IndexBoundsCheckILm4ElEESE_Lm4ESF_lEENS9_INSA_ISC_SD_Lm3ESF_lEESJ_SD_Lm4ESF_lEE,comdat
.Lfunc_end4:
	.size	_ZN2at6native12_GLOBAL__N_137upsample_bicubic2d_out_frame_parallelIN3c104HalfEfEEviT0_S5_bN5torch10headeronly6detail27GenericPackedTensorAccessorINS8_14TensorAccessorINS3_8ArrayRefIlEEKT_Lm3ENS7_16DefaultPtrTraitsElEENS_6detail16IndexBoundsCheckILm4ElEESE_Lm4ESF_lEENS9_INSA_ISC_SD_Lm3ESF_lEESJ_SD_Lm4ESF_lEE, .Lfunc_end4-_ZN2at6native12_GLOBAL__N_137upsample_bicubic2d_out_frame_parallelIN3c104HalfEfEEviT0_S5_bN5torch10headeronly6detail27GenericPackedTensorAccessorINS8_14TensorAccessorINS3_8ArrayRefIlEEKT_Lm3ENS7_16DefaultPtrTraitsElEENS_6detail16IndexBoundsCheckILm4ElEESE_Lm4ESF_lEENS9_INSA_ISC_SD_Lm3ESF_lEESJ_SD_Lm4ESF_lEE
                                        ; -- End function
	.set _ZN2at6native12_GLOBAL__N_137upsample_bicubic2d_out_frame_parallelIN3c104HalfEfEEviT0_S5_bN5torch10headeronly6detail27GenericPackedTensorAccessorINS8_14TensorAccessorINS3_8ArrayRefIlEEKT_Lm3ENS7_16DefaultPtrTraitsElEENS_6detail16IndexBoundsCheckILm4ElEESE_Lm4ESF_lEENS9_INSA_ISC_SD_Lm3ESF_lEESJ_SD_Lm4ESF_lEE.num_vgpr, 66
	.set _ZN2at6native12_GLOBAL__N_137upsample_bicubic2d_out_frame_parallelIN3c104HalfEfEEviT0_S5_bN5torch10headeronly6detail27GenericPackedTensorAccessorINS8_14TensorAccessorINS3_8ArrayRefIlEEKT_Lm3ENS7_16DefaultPtrTraitsElEENS_6detail16IndexBoundsCheckILm4ElEESE_Lm4ESF_lEENS9_INSA_ISC_SD_Lm3ESF_lEESJ_SD_Lm4ESF_lEE.num_agpr, 0
	.set _ZN2at6native12_GLOBAL__N_137upsample_bicubic2d_out_frame_parallelIN3c104HalfEfEEviT0_S5_bN5torch10headeronly6detail27GenericPackedTensorAccessorINS8_14TensorAccessorINS3_8ArrayRefIlEEKT_Lm3ENS7_16DefaultPtrTraitsElEENS_6detail16IndexBoundsCheckILm4ElEESE_Lm4ESF_lEENS9_INSA_ISC_SD_Lm3ESF_lEESJ_SD_Lm4ESF_lEE.numbered_sgpr, 40
	.set _ZN2at6native12_GLOBAL__N_137upsample_bicubic2d_out_frame_parallelIN3c104HalfEfEEviT0_S5_bN5torch10headeronly6detail27GenericPackedTensorAccessorINS8_14TensorAccessorINS3_8ArrayRefIlEEKT_Lm3ENS7_16DefaultPtrTraitsElEENS_6detail16IndexBoundsCheckILm4ElEESE_Lm4ESF_lEENS9_INSA_ISC_SD_Lm3ESF_lEESJ_SD_Lm4ESF_lEE.num_named_barrier, 0
	.set _ZN2at6native12_GLOBAL__N_137upsample_bicubic2d_out_frame_parallelIN3c104HalfEfEEviT0_S5_bN5torch10headeronly6detail27GenericPackedTensorAccessorINS8_14TensorAccessorINS3_8ArrayRefIlEEKT_Lm3ENS7_16DefaultPtrTraitsElEENS_6detail16IndexBoundsCheckILm4ElEESE_Lm4ESF_lEENS9_INSA_ISC_SD_Lm3ESF_lEESJ_SD_Lm4ESF_lEE.private_seg_size, 0
	.set _ZN2at6native12_GLOBAL__N_137upsample_bicubic2d_out_frame_parallelIN3c104HalfEfEEviT0_S5_bN5torch10headeronly6detail27GenericPackedTensorAccessorINS8_14TensorAccessorINS3_8ArrayRefIlEEKT_Lm3ENS7_16DefaultPtrTraitsElEENS_6detail16IndexBoundsCheckILm4ElEESE_Lm4ESF_lEENS9_INSA_ISC_SD_Lm3ESF_lEESJ_SD_Lm4ESF_lEE.uses_vcc, 1
	.set _ZN2at6native12_GLOBAL__N_137upsample_bicubic2d_out_frame_parallelIN3c104HalfEfEEviT0_S5_bN5torch10headeronly6detail27GenericPackedTensorAccessorINS8_14TensorAccessorINS3_8ArrayRefIlEEKT_Lm3ENS7_16DefaultPtrTraitsElEENS_6detail16IndexBoundsCheckILm4ElEESE_Lm4ESF_lEENS9_INSA_ISC_SD_Lm3ESF_lEESJ_SD_Lm4ESF_lEE.uses_flat_scratch, 0
	.set _ZN2at6native12_GLOBAL__N_137upsample_bicubic2d_out_frame_parallelIN3c104HalfEfEEviT0_S5_bN5torch10headeronly6detail27GenericPackedTensorAccessorINS8_14TensorAccessorINS3_8ArrayRefIlEEKT_Lm3ENS7_16DefaultPtrTraitsElEENS_6detail16IndexBoundsCheckILm4ElEESE_Lm4ESF_lEENS9_INSA_ISC_SD_Lm3ESF_lEESJ_SD_Lm4ESF_lEE.has_dyn_sized_stack, 0
	.set _ZN2at6native12_GLOBAL__N_137upsample_bicubic2d_out_frame_parallelIN3c104HalfEfEEviT0_S5_bN5torch10headeronly6detail27GenericPackedTensorAccessorINS8_14TensorAccessorINS3_8ArrayRefIlEEKT_Lm3ENS7_16DefaultPtrTraitsElEENS_6detail16IndexBoundsCheckILm4ElEESE_Lm4ESF_lEENS9_INSA_ISC_SD_Lm3ESF_lEESJ_SD_Lm4ESF_lEE.has_recursion, 0
	.set _ZN2at6native12_GLOBAL__N_137upsample_bicubic2d_out_frame_parallelIN3c104HalfEfEEviT0_S5_bN5torch10headeronly6detail27GenericPackedTensorAccessorINS8_14TensorAccessorINS3_8ArrayRefIlEEKT_Lm3ENS7_16DefaultPtrTraitsElEENS_6detail16IndexBoundsCheckILm4ElEESE_Lm4ESF_lEENS9_INSA_ISC_SD_Lm3ESF_lEESJ_SD_Lm4ESF_lEE.has_indirect_call, 0
	.section	.AMDGPU.csdata,"",@progbits
; Kernel info:
; codeLenInByte = 2432
; TotalNumSgprs: 46
; NumVgprs: 66
; NumAgprs: 0
; TotalNumVgprs: 66
; ScratchSize: 0
; MemoryBound: 0
; FloatMode: 240
; IeeeMode: 1
; LDSByteSize: 0 bytes/workgroup (compile time only)
; SGPRBlocks: 5
; VGPRBlocks: 8
; NumSGPRsForWavesPerEU: 46
; NumVGPRsForWavesPerEU: 66
; AccumOffset: 68
; Occupancy: 7
; WaveLimiterHint : 1
; COMPUTE_PGM_RSRC2:SCRATCH_EN: 0
; COMPUTE_PGM_RSRC2:USER_SGPR: 2
; COMPUTE_PGM_RSRC2:TRAP_HANDLER: 0
; COMPUTE_PGM_RSRC2:TGID_X_EN: 1
; COMPUTE_PGM_RSRC2:TGID_Y_EN: 0
; COMPUTE_PGM_RSRC2:TGID_Z_EN: 1
; COMPUTE_PGM_RSRC2:TIDIG_COMP_CNT: 0
; COMPUTE_PGM_RSRC3_GFX90A:ACCUM_OFFSET: 16
; COMPUTE_PGM_RSRC3_GFX90A:TG_SPLIT: 0
	.section	.text._ZN2at6native12_GLOBAL__N_128upsample_bicubic2d_out_frameIN3c104HalfEfEEviT0_S5_bN5torch10headeronly6detail27GenericPackedTensorAccessorINS8_14TensorAccessorINS3_8ArrayRefIlEEKT_Lm3ENS7_16DefaultPtrTraitsElEENS_6detail16IndexBoundsCheckILm4ElEESE_Lm4ESF_lEENS9_INSA_ISC_SD_Lm3ESF_lEESJ_SD_Lm4ESF_lEE,"axG",@progbits,_ZN2at6native12_GLOBAL__N_128upsample_bicubic2d_out_frameIN3c104HalfEfEEviT0_S5_bN5torch10headeronly6detail27GenericPackedTensorAccessorINS8_14TensorAccessorINS3_8ArrayRefIlEEKT_Lm3ENS7_16DefaultPtrTraitsElEENS_6detail16IndexBoundsCheckILm4ElEESE_Lm4ESF_lEENS9_INSA_ISC_SD_Lm3ESF_lEESJ_SD_Lm4ESF_lEE,comdat
	.globl	_ZN2at6native12_GLOBAL__N_128upsample_bicubic2d_out_frameIN3c104HalfEfEEviT0_S5_bN5torch10headeronly6detail27GenericPackedTensorAccessorINS8_14TensorAccessorINS3_8ArrayRefIlEEKT_Lm3ENS7_16DefaultPtrTraitsElEENS_6detail16IndexBoundsCheckILm4ElEESE_Lm4ESF_lEENS9_INSA_ISC_SD_Lm3ESF_lEESJ_SD_Lm4ESF_lEE ; -- Begin function _ZN2at6native12_GLOBAL__N_128upsample_bicubic2d_out_frameIN3c104HalfEfEEviT0_S5_bN5torch10headeronly6detail27GenericPackedTensorAccessorINS8_14TensorAccessorINS3_8ArrayRefIlEEKT_Lm3ENS7_16DefaultPtrTraitsElEENS_6detail16IndexBoundsCheckILm4ElEESE_Lm4ESF_lEENS9_INSA_ISC_SD_Lm3ESF_lEESJ_SD_Lm4ESF_lEE
	.p2align	8
	.type	_ZN2at6native12_GLOBAL__N_128upsample_bicubic2d_out_frameIN3c104HalfEfEEviT0_S5_bN5torch10headeronly6detail27GenericPackedTensorAccessorINS8_14TensorAccessorINS3_8ArrayRefIlEEKT_Lm3ENS7_16DefaultPtrTraitsElEENS_6detail16IndexBoundsCheckILm4ElEESE_Lm4ESF_lEENS9_INSA_ISC_SD_Lm3ESF_lEESJ_SD_Lm4ESF_lEE,@function
_ZN2at6native12_GLOBAL__N_128upsample_bicubic2d_out_frameIN3c104HalfEfEEviT0_S5_bN5torch10headeronly6detail27GenericPackedTensorAccessorINS8_14TensorAccessorINS3_8ArrayRefIlEEKT_Lm3ENS7_16DefaultPtrTraitsElEENS_6detail16IndexBoundsCheckILm4ElEESE_Lm4ESF_lEENS9_INSA_ISC_SD_Lm3ESF_lEESJ_SD_Lm4ESF_lEE: ; @_ZN2at6native12_GLOBAL__N_128upsample_bicubic2d_out_frameIN3c104HalfEfEEviT0_S5_bN5torch10headeronly6detail27GenericPackedTensorAccessorINS8_14TensorAccessorINS3_8ArrayRefIlEEKT_Lm3ENS7_16DefaultPtrTraitsElEENS_6detail16IndexBoundsCheckILm4ElEESE_Lm4ESF_lEENS9_INSA_ISC_SD_Lm3ESF_lEESJ_SD_Lm4ESF_lEE
; %bb.0:
	s_load_dword s3, s[0:1], 0xac
	s_load_dwordx4 s[12:15], s[0:1], 0x0
	s_waitcnt lgkmcnt(0)
	s_and_b32 s3, s3, 0xffff
	s_mul_i32 s2, s2, s3
	v_add_u32_e32 v0, s2, v0
	v_cmp_gt_i32_e32 vcc, s12, v0
	s_and_saveexec_b64 s[2:3], vcc
	s_cbranch_execz .LBB5_14
; %bb.1:
	s_load_dwordx4 s[16:19], s[0:1], 0x70
	s_load_dwordx8 s[4:11], s[0:1], 0x18
	v_sub_u32_e32 v2, 0, v0
	v_max_i32_e32 v2, v0, v2
	s_waitcnt lgkmcnt(0)
	s_abs_i32 s12, s18
	v_cvt_f32_u32_e32 v1, s12
	s_sub_i32 s5, 0, s12
	v_xor_b32_e32 v3, s18, v0
	v_ashrrev_i32_e32 v3, 31, v3
	v_rcp_iflag_f32_e32 v1, v1
	s_cmp_lg_u32 s8, s16
	s_cselect_b64 s[2:3], -1, 0
	s_cmp_lg_u32 s10, s18
	v_mul_f32_e32 v1, 0x4f7ffffe, v1
	v_cvt_u32_f32_e32 v1, v1
	s_cselect_b64 s[16:17], -1, 0
	v_mul_lo_u32 v4, s5, v1
	v_mul_hi_u32 v4, v1, v4
	v_add_u32_e32 v1, v1, v4
	v_mul_hi_u32 v1, v2, v1
	v_mul_lo_u32 v4, v1, s12
	v_sub_u32_e32 v2, v2, v4
	v_add_u32_e32 v5, 1, v1
	v_cmp_le_u32_e32 vcc, s12, v2
	v_subrev_u32_e32 v4, s12, v2
	s_nop 0
	v_cndmask_b32_e32 v1, v1, v5, vcc
	v_cndmask_b32_e32 v2, v2, v4, vcc
	v_add_u32_e32 v4, 1, v1
	v_cmp_le_u32_e32 vcc, s12, v2
	s_nop 1
	v_cndmask_b32_e32 v1, v1, v4, vcc
	v_xor_b32_e32 v1, v1, v3
	v_sub_u32_e32 v49, v1, v3
	v_mul_lo_u32 v1, v49, s18
	s_or_b64 s[18:19], s[16:17], s[2:3]
	s_cmp_gt_i32 s4, 0
	v_sub_u32_e32 v48, v0, v1
	s_mov_b64 s[16:17], -1
	s_cselect_b64 s[2:3], -1, 0
	s_and_b64 vcc, exec, s[18:19]
	s_cbranch_vccz .LBB5_8
; %bb.2:
	s_andn2_b64 vcc, exec, s[2:3]
	s_cbranch_vccnz .LBB5_7
; %bb.3:
	v_cvt_f32_i32_e32 v0, v49
	s_bitcmp1_b32 s15, 0
	v_cvt_f32_i32_e32 v1, v48
	s_cselect_b64 vcc, -1, 0
	v_mul_f32_e32 v2, s13, v0
	v_add_f32_e32 v0, 0.5, v0
	v_fma_f32 v0, s13, v0, -0.5
	v_cndmask_b32_e32 v0, v0, v2, vcc
	v_floor_f32_e32 v2, v0
	v_cvt_i32_f32_e32 v3, v2
	v_mul_f32_e32 v2, s14, v1
	v_add_f32_e32 v1, 0.5, v1
	v_fma_f32 v1, s14, v1, -0.5
	v_cndmask_b32_e32 v1, v1, v2, vcc
	v_floor_f32_e32 v2, v1
	v_cvt_i32_f32_e32 v2, v2
	v_cvt_f32_i32_e32 v4, v3
	s_cmp_gt_i32 s6, 0
	s_cselect_b64 s[16:17], -1, 0
	s_add_i32 s20, s10, -1
	v_sub_f32_e32 v8, v0, v4
	v_add_u32_e32 v0, -1, v2
	v_cvt_f32_i32_e32 v5, v2
	v_min_i32_e32 v0, s20, v0
	v_max_i32_e32 v18, 0, v0
	v_min_i32_e32 v0, s20, v2
	v_max_i32_e32 v19, 0, v0
	v_add_u32_e32 v0, 1, v2
	v_min_i32_e32 v0, s20, v0
	v_sub_f32_e32 v7, v1, v5
	v_max_i32_e32 v23, 0, v0
	v_add_u32_e32 v0, 2, v2
	v_min_i32_e32 v0, s20, v0
	v_add_f32_e32 v10, 1.0, v7
	v_mov_b32_e32 v14, 0x40700000
	v_max_i32_e32 v25, 0, v0
	v_fmamk_f32 v0, v10, 0xbf400000, v14
	v_mov_b32_e32 v15, 0xc0100000
	v_fmaak_f32 v6, v10, v0, 0xc0c00000
	v_fmamk_f32 v0, v7, 0x3fa00000, v15
	v_sub_f32_e32 v2, 1.0, v7
	v_mul_f32_e32 v11, v7, v0
	v_fmamk_f32 v0, v2, 0x3fa00000, v15
	v_mul_f32_e32 v0, v2, v0
	v_add_f32_e32 v4, 1.0, v2
	v_fma_f32 v0, v2, v0, 1.0
	v_fmamk_f32 v2, v4, 0xbf400000, v14
	s_mov_b32 s30, 1.0
	v_fmaak_f32 v5, v4, v2, 0xc0c00000
	v_mov_b32_e32 v2, 0x40400000
	s_mov_b32 s31, 0x40400000
	v_fmac_f32_e32 v2, v4, v5
	v_add_f32_e32 v5, 1.0, v8
	v_fmamk_f32 v4, v5, 0xbf400000, v14
	s_mov_b32 s20, s31
	s_mov_b32 s21, s30
	v_fmaak_f32 v9, v5, v4, 0xc0c00000
	v_fmamk_f32 v4, v8, 0x3fa00000, v15
	v_pk_fma_f32 v[6:7], v[6:7], v[10:11], s[20:21]
	s_load_dwordx8 s[20:27], s[0:1], 0x80
	v_mul_f32_e32 v4, v8, v4
	v_sub_f32_e32 v12, 1.0, v8
	v_pk_fma_f32 v[4:5], v[8:9], v[4:5], s[30:31]
	v_add_f32_e32 v9, 1.0, v12
	v_mov_b32_e32 v13, 0xc0c00000
	v_fmac_f32_e32 v15, 0x3fa00000, v12
	v_fmac_f32_e32 v14, 0xbf400000, v9
	s_add_i32 s7, s8, -1
	s_load_dwordx2 s[18:19], s[0:1], 0x10
	s_load_dwordx8 s[8:15], s[0:1], 0x38
	s_load_dwordx2 s[28:29], s[0:1], 0x58
	v_mul_f32_e32 v8, v12, v15
	v_fmac_f32_e32 v13, v9, v14
	v_ashrrev_i32_e32 v10, 31, v49
	v_add_u32_e32 v1, -1, v3
	v_pk_fma_f32 v[8:9], v[8:9], v[12:13], s[30:31]
	s_waitcnt lgkmcnt(0)
	v_mul_lo_u32 v12, s25, v49
	v_mul_lo_u32 v13, s24, v10
	v_mad_u64_u32 v[10:11], s[24:25], s24, v49, 0
	v_add3_u32 v11, v11, v13, v12
	v_ashrrev_i32_e32 v12, 31, v48
	v_min_i32_e32 v1, s7, v1
	v_mul_lo_u32 v14, s27, v48
	v_mul_lo_u32 v15, s26, v12
	v_mad_u64_u32 v[12:13], s[24:25], s26, v48, 0
	v_max_i32_e32 v17, 0, v1
	v_add3_u32 v13, v13, v15, v14
	v_mad_u64_u32 v[14:15], s[24:25], s12, v17, 0
	v_mov_b32_e32 v16, v15
	v_mad_u64_u32 v[16:17], s[24:25], s13, v17, v[16:17]
	v_mov_b32_e32 v15, v16
	v_lshlrev_b64 v[20:21], 1, v[14:15]
	v_mad_u64_u32 v[14:15], s[24:25], s14, v18, 0
	v_mov_b32_e32 v16, v15
	v_mad_u64_u32 v[16:17], s[24:25], s15, v18, v[16:17]
	v_mov_b32_e32 v15, v16
	v_mad_u64_u32 v[16:17], s[24:25], s14, v19, 0
	v_mov_b32_e32 v18, v17
	v_mad_u64_u32 v[18:19], s[24:25], s15, v19, v[18:19]
	v_mov_b32_e32 v17, v18
	v_mad_u64_u32 v[18:19], s[24:25], s14, v23, 0
	v_min_i32_e32 v1, s7, v3
	v_mov_b32_e32 v22, v19
	v_max_i32_e32 v26, 0, v1
	v_add_u32_e32 v1, 1, v3
	v_mad_u64_u32 v[22:23], s[24:25], s15, v23, v[22:23]
	v_min_i32_e32 v1, s7, v1
	v_mov_b32_e32 v19, v22
	v_mad_u64_u32 v[22:23], s[24:25], s14, v25, 0
	v_max_i32_e32 v33, 0, v1
	v_add_u32_e32 v1, 2, v3
	v_mov_b32_e32 v24, v23
	v_min_i32_e32 v1, s7, v1
	v_mad_u64_u32 v[24:25], s[14:15], s15, v25, v[24:25]
	v_max_i32_e32 v51, 0, v1
	v_mov_b32_e32 v23, v24
	v_lshlrev_b64 v[44:45], 1, v[22:23]
	v_mad_u64_u32 v[22:23], s[14:15], s12, v26, 0
	v_mad_u64_u32 v[30:31], s[14:15], s12, v33, 0
	;; [unrolled: 1-line block ×3, first 2 shown]
	v_mov_b32_e32 v24, v23
	v_mov_b32_e32 v32, v31
	;; [unrolled: 1-line block ×3, first 2 shown]
	v_mad_u64_u32 v[24:25], s[14:15], s13, v26, v[24:25]
	v_mad_u64_u32 v[32:33], s[14:15], s13, v33, v[32:33]
	;; [unrolled: 1-line block ×3, first 2 shown]
	v_mov_b32_e32 v23, v24
	v_mov_b32_e32 v31, v32
	;; [unrolled: 1-line block ×3, first 2 shown]
	v_lshl_add_u64 v[10:11], v[10:11], 1, s[28:29]
	v_lshlrev_b64 v[38:39], 1, v[14:15]
	v_lshlrev_b64 v[40:41], 1, v[16:17]
	;; [unrolled: 1-line block ×6, first 2 shown]
	s_mov_b32 s5, 0
	v_lshl_add_u64 v[10:11], v[12:13], 1, v[10:11]
	v_mov_b32_e32 v3, v2
	v_mov_b32_e32 v1, v0
	v_pk_mov_b32 v[12:13], v[6:7], v[6:7] op_sel:[1,0]
	s_lshl_b64 s[20:21], s[20:21], 1
	s_lshl_b64 s[22:23], s[22:23], 1
	v_lshl_add_u64 v[14:15], v[20:21], 0, v[38:39]
	s_lshl_b64 s[8:9], s[8:9], 1
	s_lshl_b64 s[10:11], s[10:11], 1
	v_lshl_add_u64 v[16:17], v[40:41], 0, v[20:21]
	v_lshl_add_u64 v[18:19], v[20:21], 0, v[42:43]
	;; [unrolled: 1-line block ×15, first 2 shown]
	s_branch .LBB5_5
.LBB5_4:                                ;   in Loop: Header=BB5_5 Depth=1
	s_add_i32 s5, s5, 1
	s_add_u32 s18, s18, s8
	s_addc_u32 s19, s19, s9
	s_cmp_lg_u32 s5, s4
	v_lshl_add_u64 v[10:11], v[10:11], 0, s[20:21]
	s_cbranch_scc0 .LBB5_7
.LBB5_5:                                ; =>This Loop Header: Depth=1
                                        ;     Child Loop BB5_6 Depth 2
	s_andn2_b64 vcc, exec, s[16:17]
	s_mov_b64 s[12:13], s[18:19]
	v_mov_b64_e32 v[46:47], v[10:11]
	s_mov_b32 s7, s6
	s_cbranch_vccnz .LBB5_4
.LBB5_6:                                ;   Parent Loop BB5_5 Depth=1
                                        ; =>  This Inner Loop Header: Depth=2
	v_lshl_add_u64 v[52:53], s[12:13], 0, v[16:17]
	v_lshl_add_u64 v[58:59], s[12:13], 0, v[22:23]
	;; [unrolled: 1-line block ×4, first 2 shown]
	global_load_ushort v64, v[52:53], off
	s_nop 0
	global_load_ushort v58, v[58:59], off
	s_nop 0
	;; [unrolled: 2-line block ×3, first 2 shown]
	global_load_ushort v60, v[60:61], off
	v_lshl_add_u64 v[54:55], s[12:13], 0, v[18:19]
	v_lshl_add_u64 v[56:57], s[12:13], 0, v[20:21]
	;; [unrolled: 1-line block ×5, first 2 shown]
	global_load_ushort v61, v[54:55], off
	s_nop 0
	global_load_ushort v56, v[56:57], off
	v_lshl_add_u64 v[54:55], s[12:13], 0, v[32:33]
	global_load_ushort v57, v[62:63], off
	s_nop 0
	global_load_ushort v62, v[52:53], off
	v_lshl_add_u64 v[52:53], s[12:13], 0, v[34:35]
	global_load_ushort v63, v[50:51], off
	global_load_ushort v65, v[54:55], off
	v_lshl_add_u64 v[50:51], s[12:13], 0, v[36:37]
	global_load_ushort v66, v[52:53], off
	;; [unrolled: 3-line block ×3, first 2 shown]
	v_lshl_add_u64 v[50:51], s[12:13], 0, v[40:41]
	global_load_ushort v69, v[50:51], off
	s_add_i32 s7, s7, -1
	s_waitcnt vmcnt(13)
	v_cvt_f32_f16_e32 v51, v64
	s_waitcnt vmcnt(12)
	v_cvt_f32_f16_e32 v50, v58
	;; [unrolled: 2-line block ×4, first 2 shown]
	v_pk_mul_f32 v[50:51], v[6:7], v[50:51]
	s_nop 0
	v_pk_fma_f32 v[50:51], v[12:13], v[52:53], v[50:51]
	v_lshl_add_u64 v[52:53], s[12:13], 0, v[42:43]
	global_load_ushort v60, v[52:53], off
	v_lshl_add_u64 v[52:53], s[12:13], 0, v[44:45]
	global_load_ushort v64, v[52:53], off
	s_waitcnt vmcnt(9)
	v_cvt_f32_f16_e32 v52, v57
	v_cvt_f32_f16_e32 v55, v56
	s_waitcnt vmcnt(6)
	v_cvt_f32_f16_e32 v56, v65
	v_cvt_f32_f16_e32 v53, v61
	;; [unrolled: 3-line block ×4, first 2 shown]
	v_cvt_f32_f16_e32 v62, v67
	v_pk_mul_f32 v[56:57], v[12:13], v[56:57]
	v_pk_fma_f32 v[50:51], v[0:1], v[52:53], v[50:51]
	v_pk_fma_f32 v[56:57], v[6:7], v[58:59], v[56:57]
	;; [unrolled: 1-line block ×3, first 2 shown]
	s_add_u32 s12, s12, s10
	v_pk_mul_f32 v[50:51], v[4:5], v[50:51]
	s_addc_u32 s13, s13, s11
	v_add_f32_e32 v50, v50, v51
	s_cmp_lg_u32 s7, 0
	s_waitcnt vmcnt(1)
	v_cvt_f32_f16_e32 v61, v60
	v_cvt_f32_f16_e32 v60, v66
	s_waitcnt vmcnt(0)
	v_cvt_f32_f16_e32 v63, v64
	v_pk_fma_f32 v[52:53], v[0:1], v[60:61], v[56:57]
	s_nop 0
	v_pk_fma_f32 v[52:53], v[2:3], v[62:63], v[52:53]
	s_nop 0
	v_pk_mul_f32 v[52:53], v[8:9], v[52:53]
	s_nop 0
	v_add_f32_e32 v50, v52, v50
	v_add_f32_e32 v50, v53, v50
	v_cvt_f16_f32_e32 v50, v50
	global_store_short v[46:47], v50, off
	v_lshl_add_u64 v[46:47], v[46:47], 0, s[22:23]
	s_cbranch_scc1 .LBB5_6
	s_branch .LBB5_4
.LBB5_7:
	s_mov_b64 s[16:17], 0
.LBB5_8:
	s_andn2_b64 vcc, exec, s[16:17]
	s_cbranch_vccnz .LBB5_14
; %bb.9:
	s_andn2_b64 vcc, exec, s[2:3]
	s_cbranch_vccnz .LBB5_14
; %bb.10:
	s_load_dwordx8 s[8:15], s[0:1], 0x38
	s_load_dwordx2 s[2:3], s[0:1], 0x58
	s_load_dwordx2 s[16:17], s[0:1], 0x10
	v_ashrrev_i32_e32 v4, 31, v49
	v_ashrrev_i32_e32 v5, 31, v48
	s_cmp_gt_i32 s6, 0
	s_waitcnt lgkmcnt(0)
	v_mul_lo_u32 v2, s13, v49
	v_mul_lo_u32 v3, s12, v4
	v_mad_u64_u32 v[0:1], s[12:13], s12, v49, 0
	v_add3_u32 v1, v1, v3, v2
	v_lshl_add_u64 v[0:1], v[0:1], 1, s[16:17]
	s_load_dwordx8 s[16:23], s[0:1], 0x80
	v_mul_lo_u32 v6, s15, v48
	v_mul_lo_u32 v7, s14, v5
	v_mad_u64_u32 v[2:3], s[0:1], s14, v48, 0
	v_add3_u32 v3, v3, v7, v6
	v_lshl_add_u64 v[0:1], v[2:3], 1, v[0:1]
	s_waitcnt lgkmcnt(0)
	v_mul_lo_u32 v6, s21, v49
	v_mul_lo_u32 v4, s20, v4
	v_mad_u64_u32 v[2:3], s[0:1], s20, v49, 0
	v_add3_u32 v3, v3, v4, v6
	v_mul_lo_u32 v6, s23, v48
	v_mul_lo_u32 v7, s22, v5
	v_mad_u64_u32 v[4:5], s[0:1], s22, v48, 0
	s_cselect_b64 s[24:25], -1, 0
	v_lshl_add_u64 v[2:3], v[2:3], 1, s[2:3]
	v_add3_u32 v5, v5, v7, v6
	v_lshl_add_u64 v[2:3], v[4:5], 1, v[2:3]
	v_cndmask_b32_e64 v4, 0, 1, s[24:25]
	s_mov_b32 s5, 0
	s_lshl_b64 s[2:3], s[16:17], 1
	s_lshl_b64 s[12:13], s[18:19], 1
	;; [unrolled: 1-line block ×4, first 2 shown]
	v_cmp_ne_u32_e64 s[0:1], 1, v4
	s_branch .LBB5_12
.LBB5_11:                               ;   in Loop: Header=BB5_12 Depth=1
	s_add_i32 s5, s5, 1
	v_lshl_add_u64 v[2:3], v[2:3], 0, s[2:3]
	s_cmp_eq_u32 s5, s4
	v_lshl_add_u64 v[0:1], v[0:1], 0, s[8:9]
	s_cbranch_scc1 .LBB5_14
.LBB5_12:                               ; =>This Loop Header: Depth=1
                                        ;     Child Loop BB5_13 Depth 2
	s_and_b64 vcc, exec, s[0:1]
	v_mov_b64_e32 v[4:5], v[0:1]
	v_mov_b64_e32 v[6:7], v[2:3]
	s_mov_b32 s7, s6
	s_cbranch_vccnz .LBB5_11
.LBB5_13:                               ;   Parent Loop BB5_12 Depth=1
                                        ; =>  This Inner Loop Header: Depth=2
	global_load_ushort v8, v[4:5], off
	s_add_i32 s7, s7, -1
	v_lshl_add_u64 v[4:5], v[4:5], 0, s[10:11]
	s_cmp_eq_u32 s7, 0
	s_waitcnt vmcnt(0)
	global_store_short v[6:7], v8, off
	v_lshl_add_u64 v[6:7], v[6:7], 0, s[12:13]
	s_cbranch_scc0 .LBB5_13
	s_branch .LBB5_11
.LBB5_14:
	s_endpgm
	.section	.rodata,"a",@progbits
	.p2align	6, 0x0
	.amdhsa_kernel _ZN2at6native12_GLOBAL__N_128upsample_bicubic2d_out_frameIN3c104HalfEfEEviT0_S5_bN5torch10headeronly6detail27GenericPackedTensorAccessorINS8_14TensorAccessorINS3_8ArrayRefIlEEKT_Lm3ENS7_16DefaultPtrTraitsElEENS_6detail16IndexBoundsCheckILm4ElEESE_Lm4ESF_lEENS9_INSA_ISC_SD_Lm3ESF_lEESJ_SD_Lm4ESF_lEE
		.amdhsa_group_segment_fixed_size 0
		.amdhsa_private_segment_fixed_size 0
		.amdhsa_kernarg_size 416
		.amdhsa_user_sgpr_count 2
		.amdhsa_user_sgpr_dispatch_ptr 0
		.amdhsa_user_sgpr_queue_ptr 0
		.amdhsa_user_sgpr_kernarg_segment_ptr 1
		.amdhsa_user_sgpr_dispatch_id 0
		.amdhsa_user_sgpr_kernarg_preload_length 0
		.amdhsa_user_sgpr_kernarg_preload_offset 0
		.amdhsa_user_sgpr_private_segment_size 0
		.amdhsa_uses_dynamic_stack 0
		.amdhsa_enable_private_segment 0
		.amdhsa_system_sgpr_workgroup_id_x 1
		.amdhsa_system_sgpr_workgroup_id_y 0
		.amdhsa_system_sgpr_workgroup_id_z 0
		.amdhsa_system_sgpr_workgroup_info 0
		.amdhsa_system_vgpr_workitem_id 0
		.amdhsa_next_free_vgpr 70
		.amdhsa_next_free_sgpr 32
		.amdhsa_accum_offset 72
		.amdhsa_reserve_vcc 1
		.amdhsa_float_round_mode_32 0
		.amdhsa_float_round_mode_16_64 0
		.amdhsa_float_denorm_mode_32 3
		.amdhsa_float_denorm_mode_16_64 3
		.amdhsa_dx10_clamp 1
		.amdhsa_ieee_mode 1
		.amdhsa_fp16_overflow 0
		.amdhsa_tg_split 0
		.amdhsa_exception_fp_ieee_invalid_op 0
		.amdhsa_exception_fp_denorm_src 0
		.amdhsa_exception_fp_ieee_div_zero 0
		.amdhsa_exception_fp_ieee_overflow 0
		.amdhsa_exception_fp_ieee_underflow 0
		.amdhsa_exception_fp_ieee_inexact 0
		.amdhsa_exception_int_div_zero 0
	.end_amdhsa_kernel
	.section	.text._ZN2at6native12_GLOBAL__N_128upsample_bicubic2d_out_frameIN3c104HalfEfEEviT0_S5_bN5torch10headeronly6detail27GenericPackedTensorAccessorINS8_14TensorAccessorINS3_8ArrayRefIlEEKT_Lm3ENS7_16DefaultPtrTraitsElEENS_6detail16IndexBoundsCheckILm4ElEESE_Lm4ESF_lEENS9_INSA_ISC_SD_Lm3ESF_lEESJ_SD_Lm4ESF_lEE,"axG",@progbits,_ZN2at6native12_GLOBAL__N_128upsample_bicubic2d_out_frameIN3c104HalfEfEEviT0_S5_bN5torch10headeronly6detail27GenericPackedTensorAccessorINS8_14TensorAccessorINS3_8ArrayRefIlEEKT_Lm3ENS7_16DefaultPtrTraitsElEENS_6detail16IndexBoundsCheckILm4ElEESE_Lm4ESF_lEENS9_INSA_ISC_SD_Lm3ESF_lEESJ_SD_Lm4ESF_lEE,comdat
.Lfunc_end5:
	.size	_ZN2at6native12_GLOBAL__N_128upsample_bicubic2d_out_frameIN3c104HalfEfEEviT0_S5_bN5torch10headeronly6detail27GenericPackedTensorAccessorINS8_14TensorAccessorINS3_8ArrayRefIlEEKT_Lm3ENS7_16DefaultPtrTraitsElEENS_6detail16IndexBoundsCheckILm4ElEESE_Lm4ESF_lEENS9_INSA_ISC_SD_Lm3ESF_lEESJ_SD_Lm4ESF_lEE, .Lfunc_end5-_ZN2at6native12_GLOBAL__N_128upsample_bicubic2d_out_frameIN3c104HalfEfEEviT0_S5_bN5torch10headeronly6detail27GenericPackedTensorAccessorINS8_14TensorAccessorINS3_8ArrayRefIlEEKT_Lm3ENS7_16DefaultPtrTraitsElEENS_6detail16IndexBoundsCheckILm4ElEESE_Lm4ESF_lEENS9_INSA_ISC_SD_Lm3ESF_lEESJ_SD_Lm4ESF_lEE
                                        ; -- End function
	.set _ZN2at6native12_GLOBAL__N_128upsample_bicubic2d_out_frameIN3c104HalfEfEEviT0_S5_bN5torch10headeronly6detail27GenericPackedTensorAccessorINS8_14TensorAccessorINS3_8ArrayRefIlEEKT_Lm3ENS7_16DefaultPtrTraitsElEENS_6detail16IndexBoundsCheckILm4ElEESE_Lm4ESF_lEENS9_INSA_ISC_SD_Lm3ESF_lEESJ_SD_Lm4ESF_lEE.num_vgpr, 70
	.set _ZN2at6native12_GLOBAL__N_128upsample_bicubic2d_out_frameIN3c104HalfEfEEviT0_S5_bN5torch10headeronly6detail27GenericPackedTensorAccessorINS8_14TensorAccessorINS3_8ArrayRefIlEEKT_Lm3ENS7_16DefaultPtrTraitsElEENS_6detail16IndexBoundsCheckILm4ElEESE_Lm4ESF_lEENS9_INSA_ISC_SD_Lm3ESF_lEESJ_SD_Lm4ESF_lEE.num_agpr, 0
	.set _ZN2at6native12_GLOBAL__N_128upsample_bicubic2d_out_frameIN3c104HalfEfEEviT0_S5_bN5torch10headeronly6detail27GenericPackedTensorAccessorINS8_14TensorAccessorINS3_8ArrayRefIlEEKT_Lm3ENS7_16DefaultPtrTraitsElEENS_6detail16IndexBoundsCheckILm4ElEESE_Lm4ESF_lEENS9_INSA_ISC_SD_Lm3ESF_lEESJ_SD_Lm4ESF_lEE.numbered_sgpr, 32
	.set _ZN2at6native12_GLOBAL__N_128upsample_bicubic2d_out_frameIN3c104HalfEfEEviT0_S5_bN5torch10headeronly6detail27GenericPackedTensorAccessorINS8_14TensorAccessorINS3_8ArrayRefIlEEKT_Lm3ENS7_16DefaultPtrTraitsElEENS_6detail16IndexBoundsCheckILm4ElEESE_Lm4ESF_lEENS9_INSA_ISC_SD_Lm3ESF_lEESJ_SD_Lm4ESF_lEE.num_named_barrier, 0
	.set _ZN2at6native12_GLOBAL__N_128upsample_bicubic2d_out_frameIN3c104HalfEfEEviT0_S5_bN5torch10headeronly6detail27GenericPackedTensorAccessorINS8_14TensorAccessorINS3_8ArrayRefIlEEKT_Lm3ENS7_16DefaultPtrTraitsElEENS_6detail16IndexBoundsCheckILm4ElEESE_Lm4ESF_lEENS9_INSA_ISC_SD_Lm3ESF_lEESJ_SD_Lm4ESF_lEE.private_seg_size, 0
	.set _ZN2at6native12_GLOBAL__N_128upsample_bicubic2d_out_frameIN3c104HalfEfEEviT0_S5_bN5torch10headeronly6detail27GenericPackedTensorAccessorINS8_14TensorAccessorINS3_8ArrayRefIlEEKT_Lm3ENS7_16DefaultPtrTraitsElEENS_6detail16IndexBoundsCheckILm4ElEESE_Lm4ESF_lEENS9_INSA_ISC_SD_Lm3ESF_lEESJ_SD_Lm4ESF_lEE.uses_vcc, 1
	.set _ZN2at6native12_GLOBAL__N_128upsample_bicubic2d_out_frameIN3c104HalfEfEEviT0_S5_bN5torch10headeronly6detail27GenericPackedTensorAccessorINS8_14TensorAccessorINS3_8ArrayRefIlEEKT_Lm3ENS7_16DefaultPtrTraitsElEENS_6detail16IndexBoundsCheckILm4ElEESE_Lm4ESF_lEENS9_INSA_ISC_SD_Lm3ESF_lEESJ_SD_Lm4ESF_lEE.uses_flat_scratch, 0
	.set _ZN2at6native12_GLOBAL__N_128upsample_bicubic2d_out_frameIN3c104HalfEfEEviT0_S5_bN5torch10headeronly6detail27GenericPackedTensorAccessorINS8_14TensorAccessorINS3_8ArrayRefIlEEKT_Lm3ENS7_16DefaultPtrTraitsElEENS_6detail16IndexBoundsCheckILm4ElEESE_Lm4ESF_lEENS9_INSA_ISC_SD_Lm3ESF_lEESJ_SD_Lm4ESF_lEE.has_dyn_sized_stack, 0
	.set _ZN2at6native12_GLOBAL__N_128upsample_bicubic2d_out_frameIN3c104HalfEfEEviT0_S5_bN5torch10headeronly6detail27GenericPackedTensorAccessorINS8_14TensorAccessorINS3_8ArrayRefIlEEKT_Lm3ENS7_16DefaultPtrTraitsElEENS_6detail16IndexBoundsCheckILm4ElEESE_Lm4ESF_lEENS9_INSA_ISC_SD_Lm3ESF_lEESJ_SD_Lm4ESF_lEE.has_recursion, 0
	.set _ZN2at6native12_GLOBAL__N_128upsample_bicubic2d_out_frameIN3c104HalfEfEEviT0_S5_bN5torch10headeronly6detail27GenericPackedTensorAccessorINS8_14TensorAccessorINS3_8ArrayRefIlEEKT_Lm3ENS7_16DefaultPtrTraitsElEENS_6detail16IndexBoundsCheckILm4ElEESE_Lm4ESF_lEENS9_INSA_ISC_SD_Lm3ESF_lEESJ_SD_Lm4ESF_lEE.has_indirect_call, 0
	.section	.AMDGPU.csdata,"",@progbits
; Kernel info:
; codeLenInByte = 2180
; TotalNumSgprs: 38
; NumVgprs: 70
; NumAgprs: 0
; TotalNumVgprs: 70
; ScratchSize: 0
; MemoryBound: 0
; FloatMode: 240
; IeeeMode: 1
; LDSByteSize: 0 bytes/workgroup (compile time only)
; SGPRBlocks: 4
; VGPRBlocks: 8
; NumSGPRsForWavesPerEU: 38
; NumVGPRsForWavesPerEU: 70
; AccumOffset: 72
; Occupancy: 7
; WaveLimiterHint : 1
; COMPUTE_PGM_RSRC2:SCRATCH_EN: 0
; COMPUTE_PGM_RSRC2:USER_SGPR: 2
; COMPUTE_PGM_RSRC2:TRAP_HANDLER: 0
; COMPUTE_PGM_RSRC2:TGID_X_EN: 1
; COMPUTE_PGM_RSRC2:TGID_Y_EN: 0
; COMPUTE_PGM_RSRC2:TGID_Z_EN: 0
; COMPUTE_PGM_RSRC2:TIDIG_COMP_CNT: 0
; COMPUTE_PGM_RSRC3_GFX90A:ACCUM_OFFSET: 17
; COMPUTE_PGM_RSRC3_GFX90A:TG_SPLIT: 0
	.section	.text._ZN2at6native12_GLOBAL__N_137upsample_bicubic2d_out_frame_parallelIN3c108BFloat16EfEEviT0_S5_bN5torch10headeronly6detail27GenericPackedTensorAccessorINS8_14TensorAccessorINS3_8ArrayRefIlEEKT_Lm3ENS7_16DefaultPtrTraitsElEENS_6detail16IndexBoundsCheckILm4ElEESE_Lm4ESF_lEENS9_INSA_ISC_SD_Lm3ESF_lEESJ_SD_Lm4ESF_lEE,"axG",@progbits,_ZN2at6native12_GLOBAL__N_137upsample_bicubic2d_out_frame_parallelIN3c108BFloat16EfEEviT0_S5_bN5torch10headeronly6detail27GenericPackedTensorAccessorINS8_14TensorAccessorINS3_8ArrayRefIlEEKT_Lm3ENS7_16DefaultPtrTraitsElEENS_6detail16IndexBoundsCheckILm4ElEESE_Lm4ESF_lEENS9_INSA_ISC_SD_Lm3ESF_lEESJ_SD_Lm4ESF_lEE,comdat
	.globl	_ZN2at6native12_GLOBAL__N_137upsample_bicubic2d_out_frame_parallelIN3c108BFloat16EfEEviT0_S5_bN5torch10headeronly6detail27GenericPackedTensorAccessorINS8_14TensorAccessorINS3_8ArrayRefIlEEKT_Lm3ENS7_16DefaultPtrTraitsElEENS_6detail16IndexBoundsCheckILm4ElEESE_Lm4ESF_lEENS9_INSA_ISC_SD_Lm3ESF_lEESJ_SD_Lm4ESF_lEE ; -- Begin function _ZN2at6native12_GLOBAL__N_137upsample_bicubic2d_out_frame_parallelIN3c108BFloat16EfEEviT0_S5_bN5torch10headeronly6detail27GenericPackedTensorAccessorINS8_14TensorAccessorINS3_8ArrayRefIlEEKT_Lm3ENS7_16DefaultPtrTraitsElEENS_6detail16IndexBoundsCheckILm4ElEESE_Lm4ESF_lEENS9_INSA_ISC_SD_Lm3ESF_lEESJ_SD_Lm4ESF_lEE
	.p2align	8
	.type	_ZN2at6native12_GLOBAL__N_137upsample_bicubic2d_out_frame_parallelIN3c108BFloat16EfEEviT0_S5_bN5torch10headeronly6detail27GenericPackedTensorAccessorINS8_14TensorAccessorINS3_8ArrayRefIlEEKT_Lm3ENS7_16DefaultPtrTraitsElEENS_6detail16IndexBoundsCheckILm4ElEESE_Lm4ESF_lEENS9_INSA_ISC_SD_Lm3ESF_lEESJ_SD_Lm4ESF_lEE,@function
_ZN2at6native12_GLOBAL__N_137upsample_bicubic2d_out_frame_parallelIN3c108BFloat16EfEEviT0_S5_bN5torch10headeronly6detail27GenericPackedTensorAccessorINS8_14TensorAccessorINS3_8ArrayRefIlEEKT_Lm3ENS7_16DefaultPtrTraitsElEENS_6detail16IndexBoundsCheckILm4ElEESE_Lm4ESF_lEENS9_INSA_ISC_SD_Lm3ESF_lEESJ_SD_Lm4ESF_lEE: ; @_ZN2at6native12_GLOBAL__N_137upsample_bicubic2d_out_frame_parallelIN3c108BFloat16EfEEviT0_S5_bN5torch10headeronly6detail27GenericPackedTensorAccessorINS8_14TensorAccessorINS3_8ArrayRefIlEEKT_Lm3ENS7_16DefaultPtrTraitsElEENS_6detail16IndexBoundsCheckILm4ElEESE_Lm4ESF_lEENS9_INSA_ISC_SD_Lm3ESF_lEESJ_SD_Lm4ESF_lEE
; %bb.0:
	s_load_dword s4, s[0:1], 0xac
	s_load_dwordx4 s[8:11], s[0:1], 0x0
	s_add_u32 s28, s0, 0xa0
	s_addc_u32 s29, s1, 0
	s_waitcnt lgkmcnt(0)
	s_and_b32 s4, s4, 0xffff
	s_mul_i32 s2, s2, s4
	v_add_u32_e32 v0, s2, v0
	v_cmp_gt_i32_e32 vcc, s8, v0
	s_and_saveexec_b64 s[4:5], vcc
	s_cbranch_execz .LBB6_10
; %bb.1:
	s_load_dwordx4 s[4:7], s[0:1], 0x70
	v_sub_u32_e32 v2, 0, v0
	v_max_i32_e32 v2, v0, v2
	s_load_dword s12, s[0:1], 0x18
	s_load_dwordx4 s[24:27], s[0:1], 0x20
	s_load_dword s8, s[0:1], 0x30
	s_waitcnt lgkmcnt(0)
	s_abs_i32 s2, s6
	v_cvt_f32_u32_e32 v1, s2
	s_sub_i32 s5, 0, s2
	v_xor_b32_e32 v3, s6, v0
	v_ashrrev_i32_e32 v3, 31, v3
	v_rcp_iflag_f32_e32 v1, v1
	s_cmp_lg_u32 s26, s4
	v_mul_f32_e32 v1, 0x4f7ffffe, v1
	v_cvt_u32_f32_e32 v1, v1
	v_mul_lo_u32 v4, s5, v1
	v_mul_hi_u32 v4, v1, v4
	v_add_u32_e32 v1, v1, v4
	v_mul_hi_u32 v1, v2, v1
	v_mul_lo_u32 v4, v1, s2
	v_sub_u32_e32 v2, v2, v4
	v_add_u32_e32 v5, 1, v1
	v_cmp_le_u32_e32 vcc, s2, v2
	v_subrev_u32_e32 v4, s2, v2
	s_cselect_b64 s[4:5], -1, 0
	v_cndmask_b32_e32 v1, v1, v5, vcc
	v_cndmask_b32_e32 v2, v2, v4, vcc
	v_add_u32_e32 v4, 1, v1
	v_cmp_le_u32_e32 vcc, s2, v2
	s_cmp_lg_u32 s8, s6
	s_mul_i32 s2, s24, s12
	v_cndmask_b32_e32 v1, v1, v4, vcc
	v_xor_b32_e32 v1, v1, v3
	v_sub_u32_e32 v33, v1, v3
	v_mul_lo_u32 v1, v33, s6
	s_cselect_b64 s[6:7], -1, 0
	s_or_b64 s[4:5], s[6:7], s[4:5]
	s_cmp_lt_i32 s3, s2
	s_cselect_b64 s[12:13], -1, 0
	v_sub_u32_e32 v32, v0, v1
	v_cndmask_b32_e64 v0, 0, 1, s[12:13]
	s_mov_b64 s[6:7], -1
	s_and_b64 vcc, exec, s[4:5]
	v_cmp_ne_u32_e64 s[4:5], 1, v0
	s_cbranch_vccz .LBB6_6
; %bb.2:
	s_and_b64 vcc, exec, s[4:5]
	s_cbranch_vccnz .LBB6_5
; %bb.3:
	v_cvt_f32_i32_e32 v0, v33
	s_bitcmp1_b32 s11, 0
	v_cvt_f32_i32_e32 v1, v32
	s_cselect_b64 vcc, -1, 0
	v_mul_f32_e32 v2, s9, v0
	v_add_f32_e32 v0, 0.5, v0
	v_fma_f32 v0, s9, v0, -0.5
	v_cndmask_b32_e32 v0, v0, v2, vcc
	v_floor_f32_e32 v2, v0
	v_cvt_i32_f32_e32 v3, v2
	v_mul_f32_e32 v2, s10, v1
	v_add_f32_e32 v1, 0.5, v1
	v_fma_f32 v1, s10, v1, -0.5
	v_cndmask_b32_e32 v1, v1, v2, vcc
	v_floor_f32_e32 v2, v1
	v_cvt_i32_f32_e32 v2, v2
	v_cvt_f32_i32_e32 v4, v3
	s_add_i32 s18, s8, -1
	s_load_dwordx8 s[8:15], s[0:1], 0x38
	v_cvt_f32_i32_e32 v5, v2
	v_sub_f32_e32 v8, v0, v4
	v_add_u32_e32 v0, -1, v2
	v_min_i32_e32 v0, s18, v0
	v_sub_f32_e32 v7, v1, v5
	v_max_i32_e32 v1, 0, v0
	s_waitcnt lgkmcnt(0)
	v_mad_u64_u32 v[24:25], s[16:17], s14, v1, 0
	v_mov_b32_e32 v0, v25
	v_mad_u64_u32 v[0:1], s[16:17], s15, v1, v[0:1]
	v_mov_b32_e32 v25, v0
	v_min_i32_e32 v0, s18, v2
	v_max_i32_e32 v1, 0, v0
	v_mad_u64_u32 v[26:27], s[16:17], s14, v1, 0
	v_mov_b32_e32 v0, v27
	v_mad_u64_u32 v[0:1], s[16:17], s15, v1, v[0:1]
	v_mov_b32_e32 v27, v0
	v_add_u32_e32 v0, 1, v2
	v_min_i32_e32 v0, s18, v0
	v_max_i32_e32 v1, 0, v0
	v_mad_u64_u32 v[28:29], s[16:17], s14, v1, 0
	v_mov_b32_e32 v0, v29
	v_mad_u64_u32 v[0:1], s[16:17], s15, v1, v[0:1]
	v_mov_b32_e32 v29, v0
	v_add_u32_e32 v0, 2, v2
	v_min_i32_e32 v0, s18, v0
	v_max_i32_e32 v1, 0, v0
	v_mad_u64_u32 v[30:31], s[16:17], s14, v1, 0
	v_mov_b32_e32 v0, v31
	v_mad_u64_u32 v[0:1], s[14:15], s15, v1, v[0:1]
	v_add_f32_e32 v10, 1.0, v7
	v_mov_b32_e32 v1, 0x40700000
	v_mov_b32_e32 v31, v0
	v_fmamk_f32 v0, v10, 0xbf400000, v1
	v_mov_b32_e32 v15, 0xc0100000
	v_fmaak_f32 v6, v10, v0, 0xc0c00000
	v_fmamk_f32 v0, v7, 0x3fa00000, v15
	v_sub_f32_e32 v2, 1.0, v7
	v_mul_f32_e32 v11, v7, v0
	v_fmamk_f32 v0, v2, 0x3fa00000, v15
	v_mul_f32_e32 v0, v2, v0
	v_add_f32_e32 v4, 1.0, v2
	v_fma_f32 v0, v2, v0, 1.0
	v_fmamk_f32 v2, v4, 0xbf400000, v1
	s_mov_b32 s14, 1.0
	v_fmaak_f32 v5, v4, v2, 0xc0c00000
	v_mov_b32_e32 v2, 0x40400000
	s_mov_b32 s15, 0x40400000
	v_fmac_f32_e32 v2, v4, v5
	v_add_f32_e32 v5, 1.0, v8
	v_fmamk_f32 v4, v5, 0xbf400000, v1
	s_mov_b32 s16, s15
	s_mov_b32 s17, s14
	v_fmaak_f32 v9, v5, v4, 0xc0c00000
	v_fmamk_f32 v4, v8, 0x3fa00000, v15
	v_pk_fma_f32 v[6:7], v[6:7], v[10:11], s[16:17]
	s_load_dwordx8 s[16:23], s[0:1], 0x80
	v_mul_f32_e32 v4, v8, v4
	v_sub_f32_e32 v12, 1.0, v8
	v_pk_fma_f32 v[4:5], v[8:9], v[4:5], s[14:15]
	v_add_f32_e32 v9, 1.0, v12
	v_mov_b32_e32 v13, 0xc0c00000
	v_fmac_f32_e32 v15, 0x3fa00000, v12
	v_fmac_f32_e32 v1, 0xbf400000, v9
	v_mul_f32_e32 v8, v12, v15
	v_fmac_f32_e32 v13, v9, v1
	v_ashrrev_i32_e32 v1, 31, v33
	v_pk_fma_f32 v[8:9], v[8:9], v[12:13], s[14:15]
	s_waitcnt lgkmcnt(0)
	v_mul_lo_u32 v12, s21, v33
	v_mul_lo_u32 v1, s20, v1
	v_mad_u64_u32 v[10:11], s[14:15], s20, v33, 0
	v_add3_u32 v11, v11, v1, v12
	v_ashrrev_i32_e32 v1, 31, v32
	v_add_u32_e32 v14, -1, v3
	s_add_i32 s25, s26, -1
	v_mul_lo_u32 v15, s23, v32
	v_mul_lo_u32 v1, s22, v1
	v_mad_u64_u32 v[12:13], s[14:15], s22, v32, 0
	v_add3_u32 v13, v13, v1, v15
	v_min_i32_e32 v1, s25, v14
	v_max_i32_e32 v1, 0, v1
	v_mad_u64_u32 v[14:15], s[20:21], s12, v1, 0
	v_mov_b32_e32 v16, v15
	v_mad_u64_u32 v[16:17], s[20:21], s13, v1, v[16:17]
	v_min_i32_e32 v1, s25, v3
	v_max_i32_e32 v1, 0, v1
	v_mov_b32_e32 v15, v16
	v_mad_u64_u32 v[16:17], s[20:21], s12, v1, 0
	v_mov_b32_e32 v18, v17
	v_mad_u64_u32 v[18:19], s[20:21], s13, v1, v[18:19]
	v_add_u32_e32 v1, 1, v3
	v_min_i32_e32 v1, s25, v1
	v_max_i32_e32 v1, 0, v1
	v_mov_b32_e32 v17, v18
	v_mad_u64_u32 v[18:19], s[20:21], s12, v1, 0
	v_mov_b32_e32 v20, v19
	v_mad_u64_u32 v[20:21], s[20:21], s13, v1, v[20:21]
	v_add_u32_e32 v1, 2, v3
	v_min_i32_e32 v1, s25, v1
	v_max_i32_e32 v1, 0, v1
	v_mov_b32_e32 v19, v20
	v_mad_u64_u32 v[20:21], s[20:21], s12, v1, 0
	s_abs_i32 s12, s24
	v_cvt_f32_u32_e32 v3, s12
	v_mov_b32_e32 v22, v21
	v_mad_u64_u32 v[22:23], s[20:21], s13, v1, v[22:23]
	v_rcp_iflag_f32_e32 v23, v3
	v_mov_b32_e32 v21, v22
	s_load_dwordx2 s[6:7], s[0:1], 0x10
	s_load_dwordx2 s[26:27], s[0:1], 0x58
	s_load_dword s14, s[28:29], 0x8
	v_mul_f32_e32 v22, 0x4f7ffffe, v23
	v_cvt_u32_f32_e32 v34, v22
	s_sub_i32 s15, 0, s12
	v_mov_b32_e32 v3, v2
	v_mov_b32_e32 v1, v0
	v_readfirstlane_b32 s20, v34
	s_mul_i32 s15, s15, s20
	s_mul_hi_u32 s15, s20, s15
	v_pk_mov_b32 v[22:23], v[6:7], v[6:7] op_sel:[1,0]
	s_ashr_i32 s13, s24, 31
	s_add_i32 s15, s20, s15
	s_sub_i32 s20, 0, s24
	v_lshlrev_b64 v[24:25], 1, v[24:25]
	v_lshlrev_b64 v[26:27], 1, v[26:27]
	v_lshlrev_b64 v[28:29], 1, v[28:29]
	v_lshlrev_b64 v[30:31], 1, v[30:31]
	s_movk_i32 s21, 0x7fff
	v_mov_b32_e32 v34, 0x7fc0
	s_mov_b32 s22, s3
.LBB6_4:                                ; =>This Inner Loop Header: Depth=1
	s_abs_i32 s25, s22
	s_mul_hi_u32 s30, s25, s15
	s_mul_i32 s31, s30, s12
	s_ashr_i32 s23, s22, 31
	s_sub_i32 s25, s25, s31
	s_xor_b32 s23, s23, s13
	s_add_i32 s33, s30, 1
	s_sub_i32 s31, s25, s12
	s_cmp_ge_u32 s25, s12
	s_cselect_b32 s30, s33, s30
	s_cselect_b32 s25, s31, s25
	s_add_i32 s31, s30, 1
	s_cmp_ge_u32 s25, s12
	s_cselect_b32 s25, s31, s30
	s_xor_b32 s25, s25, s23
	s_sub_i32 s23, s25, s23
	s_ashr_i32 s33, s23, 31
	s_mul_hi_u32 s31, s8, s23
	s_mul_i32 s34, s8, s33
	s_mul_i32 s35, s9, s23
	s_add_i32 s31, s31, s34
	s_mul_i32 s25, s20, s23
	s_mul_i32 s30, s8, s23
	s_add_i32 s31, s31, s35
	s_add_i32 s25, s22, s25
	s_lshl_b64 s[30:31], s[30:31], 1
	s_waitcnt lgkmcnt(0)
	s_add_u32 s38, s6, s30
	s_addc_u32 s39, s7, s31
	s_ashr_i32 s40, s25, 31
	s_mul_hi_u32 s36, s10, s25
	s_mul_i32 s30, s10, s40
	s_mul_i32 s37, s11, s25
	s_add_i32 s30, s36, s30
	s_mul_i32 s34, s10, s25
	s_add_i32 s35, s30, s37
	s_lshl_b64 s[30:31], s[34:35], 1
	s_add_u32 s30, s38, s30
	s_addc_u32 s31, s39, s31
	v_lshl_add_u64 v[38:39], v[16:17], 1, s[30:31]
	v_lshl_add_u64 v[36:37], v[14:15], 1, s[30:31]
	;; [unrolled: 1-line block ×6, first 2 shown]
	global_load_ushort v35, v[50:51], off
	v_lshl_add_u64 v[48:49], v[36:37], 0, v[28:29]
	v_lshl_add_u64 v[52:53], v[38:39], 0, v[26:27]
	;; [unrolled: 1-line block ×6, first 2 shown]
	global_load_ushort v62, v[46:47], off
	global_load_ushort v63, v[52:53], off
	v_lshl_add_u64 v[44:45], v[36:37], 0, v[24:25]
	v_lshl_add_u64 v[36:37], v[36:37], 0, v[30:31]
	;; [unrolled: 1-line block ×6, first 2 shown]
	global_load_ushort v52, v[54:55], off
	global_load_ushort v53, v[48:49], off
	v_lshl_add_u64 v[48:49], v[42:43], 0, v[28:29]
	v_lshl_add_u64 v[42:43], v[42:43], 0, v[30:31]
	global_load_ushort v54, v[38:39], off
	global_load_ushort v55, v[36:37], off
                                        ; kill: killed $vgpr38_vgpr39
                                        ; kill: killed $vgpr36_vgpr37
	global_load_ushort v64, v[44:45], off
	global_load_ushort v65, v[58:59], off
	;; [unrolled: 1-line block ×4, first 2 shown]
                                        ; kill: killed $vgpr44_vgpr45
                                        ; kill: killed $vgpr46_vgpr47
                                        ; kill: killed $vgpr58_vgpr59
                                        ; kill: killed $vgpr50_vgpr51
	s_nop 0
	global_load_ushort v50, v[60:61], off
	global_load_ushort v51, v[48:49], off
	;; [unrolled: 1-line block ×5, first 2 shown]
	s_mul_hi_u32 s31, s16, s23
	s_mul_i32 s35, s17, s23
	s_mul_i32 s30, s16, s23
	;; [unrolled: 1-line block ×3, first 2 shown]
	s_add_i32 s23, s31, s23
	s_add_i32 s31, s23, s35
	s_lshl_b64 s[30:31], s[30:31], 1
	s_mul_hi_u32 s33, s18, s25
	s_mul_i32 s36, s19, s25
	s_mul_i32 s34, s18, s25
	;; [unrolled: 1-line block ×3, first 2 shown]
	s_add_u32 s23, s26, s30
	s_addc_u32 s37, s27, s31
	s_add_i32 s25, s33, s25
	s_add_i32 s35, s25, s36
	s_lshl_b64 s[30:31], s[34:35], 1
	s_add_u32 s30, s23, s30
	s_addc_u32 s31, s37, s31
	s_add_i32 s22, s22, s14
	v_lshl_add_u64 v[36:37], v[10:11], 1, s[30:31]
	s_cmp_lt_i32 s22, s2
	v_lshl_add_u64 v[36:37], v[12:13], 1, v[36:37]
	s_waitcnt vmcnt(15)
	v_lshlrev_b32_e32 v38, 16, v35
	s_waitcnt vmcnt(10)
	v_lshlrev_b32_e32 v44, 16, v54
	;; [unrolled: 2-line block ×4, first 2 shown]
	v_lshlrev_b32_e32 v39, 16, v62
	v_lshlrev_b32_e32 v40, 16, v63
	s_waitcnt vmcnt(6)
	v_lshlrev_b32_e32 v47, 16, v66
	v_lshlrev_b32_e32 v46, 16, v65
	v_pk_mul_f32 v[38:39], v[6:7], v[38:39]
	s_waitcnt vmcnt(5)
	v_lshlrev_b32_e32 v49, 16, v67
	v_pk_mul_f32 v[46:47], v[22:23], v[46:47]
	v_lshlrev_b32_e32 v42, 16, v52
	v_lshlrev_b32_e32 v43, 16, v53
	v_pk_fma_f32 v[38:39], v[22:23], v[40:41], v[38:39]
	s_waitcnt vmcnt(3)
	v_lshlrev_b32_e32 v51, 16, v51
	s_waitcnt vmcnt(0)
	v_lshlrev_b32_e32 v48, 16, v68
	v_lshlrev_b32_e32 v50, 16, v50
	v_pk_fma_f32 v[40:41], v[6:7], v[48:49], v[46:47]
	v_pk_fma_f32 v[38:39], v[0:1], v[42:43], v[38:39]
	v_lshlrev_b32_e32 v53, 16, v58
	v_lshlrev_b32_e32 v52, 16, v59
	v_pk_fma_f32 v[40:41], v[0:1], v[50:51], v[40:41]
	v_pk_fma_f32 v[38:39], v[2:3], v[44:45], v[38:39]
	;; [unrolled: 1-line block ×3, first 2 shown]
	v_pk_mul_f32 v[38:39], v[4:5], v[38:39]
	v_pk_mul_f32 v[40:41], v[8:9], v[40:41]
	v_add_f32_e32 v35, v38, v39
	v_add_f32_e32 v35, v40, v35
	;; [unrolled: 1-line block ×3, first 2 shown]
	v_bfe_u32 v38, v35, 16, 1
	v_add3_u32 v38, v35, v38, s21
	v_lshrrev_b32_e32 v38, 16, v38
	v_cmp_o_f32_e32 vcc, v35, v35
	s_nop 1
	v_cndmask_b32_e32 v35, v34, v38, vcc
	global_store_short v[36:37], v35, off
	s_cbranch_scc1 .LBB6_4
.LBB6_5:
	s_mov_b64 s[6:7], 0
.LBB6_6:
	s_andn2_b64 vcc, exec, s[6:7]
	s_cbranch_vccnz .LBB6_10
; %bb.7:
	s_and_b64 vcc, exec, s[4:5]
	s_cbranch_vccnz .LBB6_10
; %bb.8:
	s_load_dwordx8 s[4:11], s[0:1], 0x38
	s_load_dwordx2 s[20:21], s[0:1], 0x10
	s_load_dwordx2 s[22:23], s[0:1], 0x58
	s_load_dwordx8 s[12:19], s[0:1], 0x80
	v_ashrrev_i32_e32 v4, 31, v33
	s_waitcnt lgkmcnt(0)
	v_mul_lo_u32 v2, s9, v33
	v_mul_lo_u32 v3, s8, v4
	v_mad_u64_u32 v[0:1], s[8:9], s8, v33, 0
	v_ashrrev_i32_e32 v6, 31, v32
	v_add3_u32 v1, v1, v3, v2
	v_mul_lo_u32 v5, s11, v32
	v_mul_lo_u32 v7, s10, v6
	v_mad_u64_u32 v[2:3], s[0:1], s10, v32, 0
	v_add3_u32 v3, v3, v7, v5
	v_mul_lo_u32 v8, s16, v4
	v_mad_u64_u32 v[4:5], s[0:1], s16, v33, 0
	s_abs_i32 s0, s24
	s_nop 0
	v_cvt_f32_u32_e32 v9, s0
	v_mul_lo_u32 v7, s17, v33
	v_add3_u32 v5, v5, v8, v7
	v_mul_lo_u32 v8, s19, v32
	v_rcp_iflag_f32_e32 v9, v9
	v_mul_lo_u32 v10, s18, v6
	v_mad_u64_u32 v[6:7], s[8:9], s18, v32, 0
	v_add3_u32 v7, v7, v10, v8
	v_mul_f32_e32 v8, 0x4f7ffffe, v9
	v_cvt_u32_f32_e32 v8, v8
	s_load_dword s1, s[28:29], 0x8
	s_sub_i32 s9, 0, s0
	s_ashr_i32 s8, s24, 31
	v_readfirstlane_b32 s10, v8
	s_mul_i32 s9, s9, s10
	s_mul_hi_u32 s9, s10, s9
	s_add_i32 s9, s10, s9
	s_sub_i32 s10, 0, s24
.LBB6_9:                                ; =>This Inner Loop Header: Depth=1
	s_abs_i32 s16, s3
	s_mul_hi_u32 s17, s16, s9
	s_mul_i32 s18, s17, s0
	s_ashr_i32 s11, s3, 31
	s_sub_i32 s16, s16, s18
	s_xor_b32 s11, s11, s8
	s_add_i32 s19, s17, 1
	s_sub_i32 s18, s16, s0
	s_cmp_ge_u32 s16, s0
	s_cselect_b32 s17, s19, s17
	s_cselect_b32 s16, s18, s16
	s_add_i32 s18, s17, 1
	s_cmp_ge_u32 s16, s0
	s_cselect_b32 s16, s18, s17
	s_xor_b32 s16, s16, s11
	s_sub_i32 s11, s16, s11
	s_mul_i32 s17, s10, s11
	s_ashr_i32 s24, s11, 31
	s_mul_hi_u32 s18, s4, s11
	s_add_i32 s25, s3, s17
	s_mul_i32 s17, s4, s24
	s_mul_i32 s19, s5, s11
	s_add_i32 s17, s18, s17
	s_mul_i32 s16, s4, s11
	s_add_i32 s17, s17, s19
	s_lshl_b64 s[16:17], s[16:17], 1
	s_add_u32 s28, s20, s16
	s_addc_u32 s29, s21, s17
	s_ashr_i32 s30, s25, 31
	s_mul_hi_u32 s26, s6, s25
	s_mul_i32 s16, s6, s30
	s_mul_i32 s27, s7, s25
	s_add_i32 s16, s26, s16
	s_mul_i32 s18, s6, s25
	s_add_i32 s19, s16, s27
	s_lshl_b64 s[16:17], s[18:19], 1
	s_add_u32 s16, s28, s16
	s_addc_u32 s17, s29, s17
	v_lshl_add_u64 v[8:9], v[0:1], 1, s[16:17]
	v_lshl_add_u64 v[8:9], v[2:3], 1, v[8:9]
	global_load_ushort v10, v[8:9], off
	s_mul_hi_u32 s17, s12, s11
	s_mul_i32 s19, s13, s11
	s_mul_i32 s16, s12, s11
	;; [unrolled: 1-line block ×3, first 2 shown]
	s_add_i32 s11, s17, s11
	s_add_i32 s17, s11, s19
	s_lshl_b64 s[16:17], s[16:17], 1
	s_mul_hi_u32 s24, s14, s25
	s_mul_i32 s26, s15, s25
	s_mul_i32 s18, s14, s25
	;; [unrolled: 1-line block ×3, first 2 shown]
	s_add_u32 s11, s22, s16
	s_addc_u32 s27, s23, s17
	s_add_i32 s16, s24, s25
	s_add_i32 s19, s16, s26
	s_lshl_b64 s[16:17], s[18:19], 1
	s_add_u32 s16, s11, s16
	s_addc_u32 s17, s27, s17
	s_waitcnt lgkmcnt(0)
	s_add_i32 s3, s3, s1
	v_lshl_add_u64 v[8:9], v[4:5], 1, s[16:17]
	s_cmp_ge_i32 s3, s2
	v_lshl_add_u64 v[8:9], v[6:7], 1, v[8:9]
	s_waitcnt vmcnt(0)
	global_store_short v[8:9], v10, off
	s_cbranch_scc0 .LBB6_9
.LBB6_10:
	s_endpgm
	.section	.rodata,"a",@progbits
	.p2align	6, 0x0
	.amdhsa_kernel _ZN2at6native12_GLOBAL__N_137upsample_bicubic2d_out_frame_parallelIN3c108BFloat16EfEEviT0_S5_bN5torch10headeronly6detail27GenericPackedTensorAccessorINS8_14TensorAccessorINS3_8ArrayRefIlEEKT_Lm3ENS7_16DefaultPtrTraitsElEENS_6detail16IndexBoundsCheckILm4ElEESE_Lm4ESF_lEENS9_INSA_ISC_SD_Lm3ESF_lEESJ_SD_Lm4ESF_lEE
		.amdhsa_group_segment_fixed_size 0
		.amdhsa_private_segment_fixed_size 0
		.amdhsa_kernarg_size 416
		.amdhsa_user_sgpr_count 2
		.amdhsa_user_sgpr_dispatch_ptr 0
		.amdhsa_user_sgpr_queue_ptr 0
		.amdhsa_user_sgpr_kernarg_segment_ptr 1
		.amdhsa_user_sgpr_dispatch_id 0
		.amdhsa_user_sgpr_kernarg_preload_length 0
		.amdhsa_user_sgpr_kernarg_preload_offset 0
		.amdhsa_user_sgpr_private_segment_size 0
		.amdhsa_uses_dynamic_stack 0
		.amdhsa_enable_private_segment 0
		.amdhsa_system_sgpr_workgroup_id_x 1
		.amdhsa_system_sgpr_workgroup_id_y 0
		.amdhsa_system_sgpr_workgroup_id_z 1
		.amdhsa_system_sgpr_workgroup_info 0
		.amdhsa_system_vgpr_workitem_id 0
		.amdhsa_next_free_vgpr 69
		.amdhsa_next_free_sgpr 41
		.amdhsa_accum_offset 72
		.amdhsa_reserve_vcc 1
		.amdhsa_float_round_mode_32 0
		.amdhsa_float_round_mode_16_64 0
		.amdhsa_float_denorm_mode_32 3
		.amdhsa_float_denorm_mode_16_64 3
		.amdhsa_dx10_clamp 1
		.amdhsa_ieee_mode 1
		.amdhsa_fp16_overflow 0
		.amdhsa_tg_split 0
		.amdhsa_exception_fp_ieee_invalid_op 0
		.amdhsa_exception_fp_denorm_src 0
		.amdhsa_exception_fp_ieee_div_zero 0
		.amdhsa_exception_fp_ieee_overflow 0
		.amdhsa_exception_fp_ieee_underflow 0
		.amdhsa_exception_fp_ieee_inexact 0
		.amdhsa_exception_int_div_zero 0
	.end_amdhsa_kernel
	.section	.text._ZN2at6native12_GLOBAL__N_137upsample_bicubic2d_out_frame_parallelIN3c108BFloat16EfEEviT0_S5_bN5torch10headeronly6detail27GenericPackedTensorAccessorINS8_14TensorAccessorINS3_8ArrayRefIlEEKT_Lm3ENS7_16DefaultPtrTraitsElEENS_6detail16IndexBoundsCheckILm4ElEESE_Lm4ESF_lEENS9_INSA_ISC_SD_Lm3ESF_lEESJ_SD_Lm4ESF_lEE,"axG",@progbits,_ZN2at6native12_GLOBAL__N_137upsample_bicubic2d_out_frame_parallelIN3c108BFloat16EfEEviT0_S5_bN5torch10headeronly6detail27GenericPackedTensorAccessorINS8_14TensorAccessorINS3_8ArrayRefIlEEKT_Lm3ENS7_16DefaultPtrTraitsElEENS_6detail16IndexBoundsCheckILm4ElEESE_Lm4ESF_lEENS9_INSA_ISC_SD_Lm3ESF_lEESJ_SD_Lm4ESF_lEE,comdat
.Lfunc_end6:
	.size	_ZN2at6native12_GLOBAL__N_137upsample_bicubic2d_out_frame_parallelIN3c108BFloat16EfEEviT0_S5_bN5torch10headeronly6detail27GenericPackedTensorAccessorINS8_14TensorAccessorINS3_8ArrayRefIlEEKT_Lm3ENS7_16DefaultPtrTraitsElEENS_6detail16IndexBoundsCheckILm4ElEESE_Lm4ESF_lEENS9_INSA_ISC_SD_Lm3ESF_lEESJ_SD_Lm4ESF_lEE, .Lfunc_end6-_ZN2at6native12_GLOBAL__N_137upsample_bicubic2d_out_frame_parallelIN3c108BFloat16EfEEviT0_S5_bN5torch10headeronly6detail27GenericPackedTensorAccessorINS8_14TensorAccessorINS3_8ArrayRefIlEEKT_Lm3ENS7_16DefaultPtrTraitsElEENS_6detail16IndexBoundsCheckILm4ElEESE_Lm4ESF_lEENS9_INSA_ISC_SD_Lm3ESF_lEESJ_SD_Lm4ESF_lEE
                                        ; -- End function
	.set _ZN2at6native12_GLOBAL__N_137upsample_bicubic2d_out_frame_parallelIN3c108BFloat16EfEEviT0_S5_bN5torch10headeronly6detail27GenericPackedTensorAccessorINS8_14TensorAccessorINS3_8ArrayRefIlEEKT_Lm3ENS7_16DefaultPtrTraitsElEENS_6detail16IndexBoundsCheckILm4ElEESE_Lm4ESF_lEENS9_INSA_ISC_SD_Lm3ESF_lEESJ_SD_Lm4ESF_lEE.num_vgpr, 69
	.set _ZN2at6native12_GLOBAL__N_137upsample_bicubic2d_out_frame_parallelIN3c108BFloat16EfEEviT0_S5_bN5torch10headeronly6detail27GenericPackedTensorAccessorINS8_14TensorAccessorINS3_8ArrayRefIlEEKT_Lm3ENS7_16DefaultPtrTraitsElEENS_6detail16IndexBoundsCheckILm4ElEESE_Lm4ESF_lEENS9_INSA_ISC_SD_Lm3ESF_lEESJ_SD_Lm4ESF_lEE.num_agpr, 0
	.set _ZN2at6native12_GLOBAL__N_137upsample_bicubic2d_out_frame_parallelIN3c108BFloat16EfEEviT0_S5_bN5torch10headeronly6detail27GenericPackedTensorAccessorINS8_14TensorAccessorINS3_8ArrayRefIlEEKT_Lm3ENS7_16DefaultPtrTraitsElEENS_6detail16IndexBoundsCheckILm4ElEESE_Lm4ESF_lEENS9_INSA_ISC_SD_Lm3ESF_lEESJ_SD_Lm4ESF_lEE.numbered_sgpr, 41
	.set _ZN2at6native12_GLOBAL__N_137upsample_bicubic2d_out_frame_parallelIN3c108BFloat16EfEEviT0_S5_bN5torch10headeronly6detail27GenericPackedTensorAccessorINS8_14TensorAccessorINS3_8ArrayRefIlEEKT_Lm3ENS7_16DefaultPtrTraitsElEENS_6detail16IndexBoundsCheckILm4ElEESE_Lm4ESF_lEENS9_INSA_ISC_SD_Lm3ESF_lEESJ_SD_Lm4ESF_lEE.num_named_barrier, 0
	.set _ZN2at6native12_GLOBAL__N_137upsample_bicubic2d_out_frame_parallelIN3c108BFloat16EfEEviT0_S5_bN5torch10headeronly6detail27GenericPackedTensorAccessorINS8_14TensorAccessorINS3_8ArrayRefIlEEKT_Lm3ENS7_16DefaultPtrTraitsElEENS_6detail16IndexBoundsCheckILm4ElEESE_Lm4ESF_lEENS9_INSA_ISC_SD_Lm3ESF_lEESJ_SD_Lm4ESF_lEE.private_seg_size, 0
	.set _ZN2at6native12_GLOBAL__N_137upsample_bicubic2d_out_frame_parallelIN3c108BFloat16EfEEviT0_S5_bN5torch10headeronly6detail27GenericPackedTensorAccessorINS8_14TensorAccessorINS3_8ArrayRefIlEEKT_Lm3ENS7_16DefaultPtrTraitsElEENS_6detail16IndexBoundsCheckILm4ElEESE_Lm4ESF_lEENS9_INSA_ISC_SD_Lm3ESF_lEESJ_SD_Lm4ESF_lEE.uses_vcc, 1
	.set _ZN2at6native12_GLOBAL__N_137upsample_bicubic2d_out_frame_parallelIN3c108BFloat16EfEEviT0_S5_bN5torch10headeronly6detail27GenericPackedTensorAccessorINS8_14TensorAccessorINS3_8ArrayRefIlEEKT_Lm3ENS7_16DefaultPtrTraitsElEENS_6detail16IndexBoundsCheckILm4ElEESE_Lm4ESF_lEENS9_INSA_ISC_SD_Lm3ESF_lEESJ_SD_Lm4ESF_lEE.uses_flat_scratch, 0
	.set _ZN2at6native12_GLOBAL__N_137upsample_bicubic2d_out_frame_parallelIN3c108BFloat16EfEEviT0_S5_bN5torch10headeronly6detail27GenericPackedTensorAccessorINS8_14TensorAccessorINS3_8ArrayRefIlEEKT_Lm3ENS7_16DefaultPtrTraitsElEENS_6detail16IndexBoundsCheckILm4ElEESE_Lm4ESF_lEENS9_INSA_ISC_SD_Lm3ESF_lEESJ_SD_Lm4ESF_lEE.has_dyn_sized_stack, 0
	.set _ZN2at6native12_GLOBAL__N_137upsample_bicubic2d_out_frame_parallelIN3c108BFloat16EfEEviT0_S5_bN5torch10headeronly6detail27GenericPackedTensorAccessorINS8_14TensorAccessorINS3_8ArrayRefIlEEKT_Lm3ENS7_16DefaultPtrTraitsElEENS_6detail16IndexBoundsCheckILm4ElEESE_Lm4ESF_lEENS9_INSA_ISC_SD_Lm3ESF_lEESJ_SD_Lm4ESF_lEE.has_recursion, 0
	.set _ZN2at6native12_GLOBAL__N_137upsample_bicubic2d_out_frame_parallelIN3c108BFloat16EfEEviT0_S5_bN5torch10headeronly6detail27GenericPackedTensorAccessorINS8_14TensorAccessorINS3_8ArrayRefIlEEKT_Lm3ENS7_16DefaultPtrTraitsElEENS_6detail16IndexBoundsCheckILm4ElEESE_Lm4ESF_lEENS9_INSA_ISC_SD_Lm3ESF_lEESJ_SD_Lm4ESF_lEE.has_indirect_call, 0
	.section	.AMDGPU.csdata,"",@progbits
; Kernel info:
; codeLenInByte = 2460
; TotalNumSgprs: 47
; NumVgprs: 69
; NumAgprs: 0
; TotalNumVgprs: 69
; ScratchSize: 0
; MemoryBound: 0
; FloatMode: 240
; IeeeMode: 1
; LDSByteSize: 0 bytes/workgroup (compile time only)
; SGPRBlocks: 5
; VGPRBlocks: 8
; NumSGPRsForWavesPerEU: 47
; NumVGPRsForWavesPerEU: 69
; AccumOffset: 72
; Occupancy: 7
; WaveLimiterHint : 1
; COMPUTE_PGM_RSRC2:SCRATCH_EN: 0
; COMPUTE_PGM_RSRC2:USER_SGPR: 2
; COMPUTE_PGM_RSRC2:TRAP_HANDLER: 0
; COMPUTE_PGM_RSRC2:TGID_X_EN: 1
; COMPUTE_PGM_RSRC2:TGID_Y_EN: 0
; COMPUTE_PGM_RSRC2:TGID_Z_EN: 1
; COMPUTE_PGM_RSRC2:TIDIG_COMP_CNT: 0
; COMPUTE_PGM_RSRC3_GFX90A:ACCUM_OFFSET: 17
; COMPUTE_PGM_RSRC3_GFX90A:TG_SPLIT: 0
	.section	.text._ZN2at6native12_GLOBAL__N_128upsample_bicubic2d_out_frameIN3c108BFloat16EfEEviT0_S5_bN5torch10headeronly6detail27GenericPackedTensorAccessorINS8_14TensorAccessorINS3_8ArrayRefIlEEKT_Lm3ENS7_16DefaultPtrTraitsElEENS_6detail16IndexBoundsCheckILm4ElEESE_Lm4ESF_lEENS9_INSA_ISC_SD_Lm3ESF_lEESJ_SD_Lm4ESF_lEE,"axG",@progbits,_ZN2at6native12_GLOBAL__N_128upsample_bicubic2d_out_frameIN3c108BFloat16EfEEviT0_S5_bN5torch10headeronly6detail27GenericPackedTensorAccessorINS8_14TensorAccessorINS3_8ArrayRefIlEEKT_Lm3ENS7_16DefaultPtrTraitsElEENS_6detail16IndexBoundsCheckILm4ElEESE_Lm4ESF_lEENS9_INSA_ISC_SD_Lm3ESF_lEESJ_SD_Lm4ESF_lEE,comdat
	.globl	_ZN2at6native12_GLOBAL__N_128upsample_bicubic2d_out_frameIN3c108BFloat16EfEEviT0_S5_bN5torch10headeronly6detail27GenericPackedTensorAccessorINS8_14TensorAccessorINS3_8ArrayRefIlEEKT_Lm3ENS7_16DefaultPtrTraitsElEENS_6detail16IndexBoundsCheckILm4ElEESE_Lm4ESF_lEENS9_INSA_ISC_SD_Lm3ESF_lEESJ_SD_Lm4ESF_lEE ; -- Begin function _ZN2at6native12_GLOBAL__N_128upsample_bicubic2d_out_frameIN3c108BFloat16EfEEviT0_S5_bN5torch10headeronly6detail27GenericPackedTensorAccessorINS8_14TensorAccessorINS3_8ArrayRefIlEEKT_Lm3ENS7_16DefaultPtrTraitsElEENS_6detail16IndexBoundsCheckILm4ElEESE_Lm4ESF_lEENS9_INSA_ISC_SD_Lm3ESF_lEESJ_SD_Lm4ESF_lEE
	.p2align	8
	.type	_ZN2at6native12_GLOBAL__N_128upsample_bicubic2d_out_frameIN3c108BFloat16EfEEviT0_S5_bN5torch10headeronly6detail27GenericPackedTensorAccessorINS8_14TensorAccessorINS3_8ArrayRefIlEEKT_Lm3ENS7_16DefaultPtrTraitsElEENS_6detail16IndexBoundsCheckILm4ElEESE_Lm4ESF_lEENS9_INSA_ISC_SD_Lm3ESF_lEESJ_SD_Lm4ESF_lEE,@function
_ZN2at6native12_GLOBAL__N_128upsample_bicubic2d_out_frameIN3c108BFloat16EfEEviT0_S5_bN5torch10headeronly6detail27GenericPackedTensorAccessorINS8_14TensorAccessorINS3_8ArrayRefIlEEKT_Lm3ENS7_16DefaultPtrTraitsElEENS_6detail16IndexBoundsCheckILm4ElEESE_Lm4ESF_lEENS9_INSA_ISC_SD_Lm3ESF_lEESJ_SD_Lm4ESF_lEE: ; @_ZN2at6native12_GLOBAL__N_128upsample_bicubic2d_out_frameIN3c108BFloat16EfEEviT0_S5_bN5torch10headeronly6detail27GenericPackedTensorAccessorINS8_14TensorAccessorINS3_8ArrayRefIlEEKT_Lm3ENS7_16DefaultPtrTraitsElEENS_6detail16IndexBoundsCheckILm4ElEESE_Lm4ESF_lEENS9_INSA_ISC_SD_Lm3ESF_lEESJ_SD_Lm4ESF_lEE
; %bb.0:
	s_load_dword s3, s[0:1], 0xac
	s_load_dwordx4 s[12:15], s[0:1], 0x0
	s_waitcnt lgkmcnt(0)
	s_and_b32 s3, s3, 0xffff
	s_mul_i32 s2, s2, s3
	v_add_u32_e32 v0, s2, v0
	v_cmp_gt_i32_e32 vcc, s12, v0
	s_and_saveexec_b64 s[2:3], vcc
	s_cbranch_execz .LBB7_14
; %bb.1:
	s_load_dwordx4 s[16:19], s[0:1], 0x70
	s_load_dwordx8 s[4:11], s[0:1], 0x18
	v_sub_u32_e32 v2, 0, v0
	v_max_i32_e32 v2, v0, v2
	s_waitcnt lgkmcnt(0)
	s_abs_i32 s12, s18
	v_cvt_f32_u32_e32 v1, s12
	s_sub_i32 s5, 0, s12
	v_xor_b32_e32 v3, s18, v0
	v_ashrrev_i32_e32 v3, 31, v3
	v_rcp_iflag_f32_e32 v1, v1
	s_cmp_lg_u32 s8, s16
	s_cselect_b64 s[2:3], -1, 0
	s_cmp_lg_u32 s10, s18
	v_mul_f32_e32 v1, 0x4f7ffffe, v1
	v_cvt_u32_f32_e32 v1, v1
	s_cselect_b64 s[16:17], -1, 0
	v_mul_lo_u32 v4, s5, v1
	v_mul_hi_u32 v4, v1, v4
	v_add_u32_e32 v1, v1, v4
	v_mul_hi_u32 v1, v2, v1
	v_mul_lo_u32 v4, v1, s12
	v_sub_u32_e32 v2, v2, v4
	v_add_u32_e32 v5, 1, v1
	v_cmp_le_u32_e32 vcc, s12, v2
	v_subrev_u32_e32 v4, s12, v2
	s_nop 0
	v_cndmask_b32_e32 v1, v1, v5, vcc
	v_cndmask_b32_e32 v2, v2, v4, vcc
	v_add_u32_e32 v4, 1, v1
	v_cmp_le_u32_e32 vcc, s12, v2
	s_nop 1
	v_cndmask_b32_e32 v1, v1, v4, vcc
	v_xor_b32_e32 v1, v1, v3
	v_sub_u32_e32 v49, v1, v3
	v_mul_lo_u32 v1, v49, s18
	s_or_b64 s[18:19], s[16:17], s[2:3]
	s_cmp_gt_i32 s4, 0
	v_sub_u32_e32 v48, v0, v1
	s_mov_b64 s[16:17], -1
	s_cselect_b64 s[2:3], -1, 0
	s_and_b64 vcc, exec, s[18:19]
	s_cbranch_vccz .LBB7_8
; %bb.2:
	s_andn2_b64 vcc, exec, s[2:3]
	s_cbranch_vccnz .LBB7_7
; %bb.3:
	v_cvt_f32_i32_e32 v0, v49
	s_bitcmp1_b32 s15, 0
	v_cvt_f32_i32_e32 v1, v48
	s_cselect_b64 vcc, -1, 0
	v_mul_f32_e32 v2, s13, v0
	v_add_f32_e32 v0, 0.5, v0
	v_fma_f32 v0, s13, v0, -0.5
	v_cndmask_b32_e32 v0, v0, v2, vcc
	v_floor_f32_e32 v2, v0
	v_cvt_i32_f32_e32 v3, v2
	v_mul_f32_e32 v2, s14, v1
	v_add_f32_e32 v1, 0.5, v1
	v_fma_f32 v1, s14, v1, -0.5
	v_cndmask_b32_e32 v1, v1, v2, vcc
	v_floor_f32_e32 v2, v1
	v_cvt_i32_f32_e32 v2, v2
	v_cvt_f32_i32_e32 v4, v3
	s_cmp_gt_i32 s6, 0
	s_cselect_b64 s[16:17], -1, 0
	s_add_i32 s20, s10, -1
	v_sub_f32_e32 v8, v0, v4
	v_add_u32_e32 v0, -1, v2
	v_cvt_f32_i32_e32 v5, v2
	v_min_i32_e32 v0, s20, v0
	v_max_i32_e32 v18, 0, v0
	v_min_i32_e32 v0, s20, v2
	v_max_i32_e32 v19, 0, v0
	v_add_u32_e32 v0, 1, v2
	v_min_i32_e32 v0, s20, v0
	v_sub_f32_e32 v7, v1, v5
	v_max_i32_e32 v23, 0, v0
	v_add_u32_e32 v0, 2, v2
	v_min_i32_e32 v0, s20, v0
	v_add_f32_e32 v10, 1.0, v7
	v_mov_b32_e32 v14, 0x40700000
	v_max_i32_e32 v25, 0, v0
	v_fmamk_f32 v0, v10, 0xbf400000, v14
	v_mov_b32_e32 v15, 0xc0100000
	v_fmaak_f32 v6, v10, v0, 0xc0c00000
	v_fmamk_f32 v0, v7, 0x3fa00000, v15
	v_sub_f32_e32 v2, 1.0, v7
	v_mul_f32_e32 v11, v7, v0
	v_fmamk_f32 v0, v2, 0x3fa00000, v15
	v_mul_f32_e32 v0, v2, v0
	v_add_f32_e32 v4, 1.0, v2
	v_fma_f32 v0, v2, v0, 1.0
	v_fmamk_f32 v2, v4, 0xbf400000, v14
	s_mov_b32 s30, 1.0
	v_fmaak_f32 v5, v4, v2, 0xc0c00000
	v_mov_b32_e32 v2, 0x40400000
	s_mov_b32 s31, 0x40400000
	v_fmac_f32_e32 v2, v4, v5
	v_add_f32_e32 v5, 1.0, v8
	v_fmamk_f32 v4, v5, 0xbf400000, v14
	s_mov_b32 s20, s31
	s_mov_b32 s21, s30
	v_fmaak_f32 v9, v5, v4, 0xc0c00000
	v_fmamk_f32 v4, v8, 0x3fa00000, v15
	v_pk_fma_f32 v[6:7], v[6:7], v[10:11], s[20:21]
	s_load_dwordx8 s[20:27], s[0:1], 0x80
	v_mul_f32_e32 v4, v8, v4
	v_sub_f32_e32 v12, 1.0, v8
	v_pk_fma_f32 v[4:5], v[8:9], v[4:5], s[30:31]
	v_add_f32_e32 v9, 1.0, v12
	v_mov_b32_e32 v13, 0xc0c00000
	v_fmac_f32_e32 v15, 0x3fa00000, v12
	v_fmac_f32_e32 v14, 0xbf400000, v9
	s_add_i32 s7, s8, -1
	s_load_dwordx2 s[18:19], s[0:1], 0x10
	s_load_dwordx8 s[8:15], s[0:1], 0x38
	s_load_dwordx2 s[28:29], s[0:1], 0x58
	v_mul_f32_e32 v8, v12, v15
	v_fmac_f32_e32 v13, v9, v14
	v_ashrrev_i32_e32 v10, 31, v49
	v_add_u32_e32 v1, -1, v3
	v_pk_fma_f32 v[8:9], v[8:9], v[12:13], s[30:31]
	s_waitcnt lgkmcnt(0)
	v_mul_lo_u32 v12, s25, v49
	v_mul_lo_u32 v13, s24, v10
	v_mad_u64_u32 v[10:11], s[24:25], s24, v49, 0
	v_add3_u32 v11, v11, v13, v12
	v_ashrrev_i32_e32 v12, 31, v48
	v_min_i32_e32 v1, s7, v1
	v_mul_lo_u32 v14, s27, v48
	v_mul_lo_u32 v15, s26, v12
	v_mad_u64_u32 v[12:13], s[24:25], s26, v48, 0
	v_max_i32_e32 v17, 0, v1
	v_add3_u32 v13, v13, v15, v14
	v_mad_u64_u32 v[14:15], s[24:25], s12, v17, 0
	v_mov_b32_e32 v16, v15
	v_mad_u64_u32 v[16:17], s[24:25], s13, v17, v[16:17]
	v_mov_b32_e32 v15, v16
	v_lshlrev_b64 v[20:21], 1, v[14:15]
	v_mad_u64_u32 v[14:15], s[24:25], s14, v18, 0
	v_mov_b32_e32 v16, v15
	v_mad_u64_u32 v[16:17], s[24:25], s15, v18, v[16:17]
	v_mov_b32_e32 v15, v16
	v_mad_u64_u32 v[16:17], s[24:25], s14, v19, 0
	v_mov_b32_e32 v18, v17
	v_mad_u64_u32 v[18:19], s[24:25], s15, v19, v[18:19]
	v_mov_b32_e32 v17, v18
	v_mad_u64_u32 v[18:19], s[24:25], s14, v23, 0
	v_min_i32_e32 v1, s7, v3
	v_mov_b32_e32 v22, v19
	v_max_i32_e32 v26, 0, v1
	v_add_u32_e32 v1, 1, v3
	v_mad_u64_u32 v[22:23], s[24:25], s15, v23, v[22:23]
	v_min_i32_e32 v1, s7, v1
	v_mov_b32_e32 v19, v22
	v_mad_u64_u32 v[22:23], s[24:25], s14, v25, 0
	v_max_i32_e32 v33, 0, v1
	v_add_u32_e32 v1, 2, v3
	v_mov_b32_e32 v24, v23
	v_min_i32_e32 v1, s7, v1
	v_mad_u64_u32 v[24:25], s[14:15], s15, v25, v[24:25]
	v_max_i32_e32 v51, 0, v1
	v_mov_b32_e32 v23, v24
	v_lshlrev_b64 v[44:45], 1, v[22:23]
	v_mad_u64_u32 v[22:23], s[14:15], s12, v26, 0
	v_mad_u64_u32 v[30:31], s[14:15], s12, v33, 0
	;; [unrolled: 1-line block ×3, first 2 shown]
	v_mov_b32_e32 v24, v23
	v_mov_b32_e32 v32, v31
	;; [unrolled: 1-line block ×3, first 2 shown]
	v_mad_u64_u32 v[24:25], s[14:15], s13, v26, v[24:25]
	v_mad_u64_u32 v[32:33], s[14:15], s13, v33, v[32:33]
	;; [unrolled: 1-line block ×3, first 2 shown]
	v_mov_b32_e32 v23, v24
	v_mov_b32_e32 v31, v32
	;; [unrolled: 1-line block ×3, first 2 shown]
	v_lshl_add_u64 v[10:11], v[10:11], 1, s[28:29]
	v_lshlrev_b64 v[38:39], 1, v[14:15]
	v_lshlrev_b64 v[40:41], 1, v[16:17]
	;; [unrolled: 1-line block ×6, first 2 shown]
	s_mov_b32 s5, 0
	v_lshl_add_u64 v[10:11], v[12:13], 1, v[10:11]
	v_mov_b32_e32 v3, v2
	v_mov_b32_e32 v1, v0
	v_pk_mov_b32 v[12:13], v[6:7], v[6:7] op_sel:[1,0]
	s_lshl_b64 s[20:21], s[20:21], 1
	s_lshl_b64 s[22:23], s[22:23], 1
	v_lshl_add_u64 v[14:15], v[20:21], 0, v[38:39]
	s_lshl_b64 s[8:9], s[8:9], 1
	s_lshl_b64 s[10:11], s[10:11], 1
	v_lshl_add_u64 v[16:17], v[40:41], 0, v[20:21]
	v_lshl_add_u64 v[18:19], v[20:21], 0, v[42:43]
	;; [unrolled: 1-line block ×15, first 2 shown]
	s_movk_i32 s7, 0x7fff
	v_mov_b32_e32 v50, 0x7fc0
	s_branch .LBB7_5
.LBB7_4:                                ;   in Loop: Header=BB7_5 Depth=1
	s_add_i32 s5, s5, 1
	s_add_u32 s18, s18, s8
	s_addc_u32 s19, s19, s9
	s_cmp_lg_u32 s5, s4
	v_lshl_add_u64 v[10:11], v[10:11], 0, s[20:21]
	s_cbranch_scc0 .LBB7_7
.LBB7_5:                                ; =>This Loop Header: Depth=1
                                        ;     Child Loop BB7_6 Depth 2
	s_andn2_b64 vcc, exec, s[16:17]
	s_mov_b64 s[12:13], s[18:19]
	v_mov_b64_e32 v[46:47], v[10:11]
	s_mov_b32 s14, s6
	s_cbranch_vccnz .LBB7_4
.LBB7_6:                                ;   Parent Loop BB7_5 Depth=1
                                        ; =>  This Inner Loop Header: Depth=2
	v_lshl_add_u64 v[56:57], s[12:13], 0, v[22:23]
	v_lshl_add_u64 v[52:53], s[12:13], 0, v[14:15]
	;; [unrolled: 1-line block ×3, first 2 shown]
	global_load_ushort v51, v[56:57], off
	global_load_ushort v58, v[54:55], off
	v_lshl_add_u64 v[54:55], s[12:13], 0, v[24:25]
	global_load_ushort v56, v[52:53], off
	global_load_ushort v57, v[54:55], off
	v_lshl_add_u64 v[52:53], s[12:13], 0, v[32:33]
	global_load_ushort v59, v[52:53], off
	v_lshl_add_u64 v[52:53], s[12:13], 0, v[38:39]
	global_load_ushort v60, v[52:53], off
	s_add_i32 s14, s14, -1
	s_waitcnt vmcnt(5)
	v_lshlrev_b32_e32 v52, 16, v51
	s_waitcnt vmcnt(4)
	v_lshlrev_b32_e32 v53, 16, v58
	;; [unrolled: 2-line block ×4, first 2 shown]
	v_pk_mul_f32 v[52:53], v[6:7], v[52:53]
	s_nop 0
	v_pk_fma_f32 v[52:53], v[12:13], v[54:55], v[52:53]
	v_lshl_add_u64 v[54:55], s[12:13], 0, v[40:41]
	global_load_ushort v51, v[54:55], off
	v_lshl_add_u64 v[54:55], s[12:13], 0, v[30:31]
	global_load_ushort v56, v[54:55], off
	s_waitcnt vmcnt(2)
	v_lshlrev_b32_e32 v55, 16, v60
	v_lshlrev_b32_e32 v54, 16, v59
	v_pk_mul_f32 v[54:55], v[12:13], v[54:55]
	s_waitcnt vmcnt(1)
	v_lshlrev_b32_e32 v57, 16, v51
	s_waitcnt vmcnt(0)
	v_lshlrev_b32_e32 v56, 16, v56
	v_pk_fma_f32 v[54:55], v[6:7], v[56:57], v[54:55]
	v_lshl_add_u64 v[56:57], s[12:13], 0, v[18:19]
	global_load_ushort v51, v[56:57], off
	v_lshl_add_u64 v[56:57], s[12:13], 0, v[26:27]
	global_load_ushort v56, v[56:57], off
	s_waitcnt vmcnt(1)
	v_lshlrev_b32_e32 v57, 16, v51
	s_waitcnt vmcnt(0)
	v_lshlrev_b32_e32 v56, 16, v56
	v_pk_fma_f32 v[52:53], v[0:1], v[56:57], v[52:53]
	v_lshl_add_u64 v[56:57], s[12:13], 0, v[42:43]
	global_load_ushort v51, v[56:57], off
	v_lshl_add_u64 v[56:57], s[12:13], 0, v[34:35]
	global_load_ushort v56, v[56:57], off
	;; [unrolled: 9-line block ×4, first 2 shown]
	v_pk_mul_f32 v[52:53], v[4:5], v[52:53]
	s_add_u32 s12, s12, s10
	s_addc_u32 s13, s13, s11
	s_cmp_lg_u32 s14, 0
	s_waitcnt vmcnt(1)
	v_lshlrev_b32_e32 v57, 16, v51
	v_add_f32_e32 v51, v52, v53
	s_waitcnt vmcnt(0)
	v_lshlrev_b32_e32 v56, 16, v56
	v_pk_fma_f32 v[54:55], v[2:3], v[56:57], v[54:55]
	s_nop 0
	v_pk_mul_f32 v[54:55], v[8:9], v[54:55]
	s_nop 0
	v_add_f32_e32 v51, v54, v51
	v_add_f32_e32 v51, v55, v51
	v_bfe_u32 v52, v51, 16, 1
	v_cmp_o_f32_e32 vcc, v51, v51
	v_add3_u32 v51, v51, v52, s7
	s_nop 0
	v_cndmask_b32_sdwa v51, v50, v51, vcc dst_sel:DWORD dst_unused:UNUSED_PAD src0_sel:DWORD src1_sel:WORD_1
	global_store_short v[46:47], v51, off
	v_lshl_add_u64 v[46:47], v[46:47], 0, s[22:23]
	s_cbranch_scc1 .LBB7_6
	s_branch .LBB7_4
.LBB7_7:
	s_mov_b64 s[16:17], 0
.LBB7_8:
	s_andn2_b64 vcc, exec, s[16:17]
	s_cbranch_vccnz .LBB7_14
; %bb.9:
	s_andn2_b64 vcc, exec, s[2:3]
	s_cbranch_vccnz .LBB7_14
; %bb.10:
	s_load_dwordx8 s[8:15], s[0:1], 0x38
	s_load_dwordx2 s[2:3], s[0:1], 0x58
	s_load_dwordx2 s[16:17], s[0:1], 0x10
	v_ashrrev_i32_e32 v4, 31, v49
	v_ashrrev_i32_e32 v5, 31, v48
	s_cmp_gt_i32 s6, 0
	s_waitcnt lgkmcnt(0)
	v_mul_lo_u32 v2, s13, v49
	v_mul_lo_u32 v3, s12, v4
	v_mad_u64_u32 v[0:1], s[12:13], s12, v49, 0
	v_add3_u32 v1, v1, v3, v2
	v_lshl_add_u64 v[0:1], v[0:1], 1, s[16:17]
	s_load_dwordx8 s[16:23], s[0:1], 0x80
	v_mul_lo_u32 v6, s15, v48
	v_mul_lo_u32 v7, s14, v5
	v_mad_u64_u32 v[2:3], s[0:1], s14, v48, 0
	v_add3_u32 v3, v3, v7, v6
	v_lshl_add_u64 v[0:1], v[2:3], 1, v[0:1]
	s_waitcnt lgkmcnt(0)
	v_mul_lo_u32 v6, s21, v49
	v_mul_lo_u32 v4, s20, v4
	v_mad_u64_u32 v[2:3], s[0:1], s20, v49, 0
	v_add3_u32 v3, v3, v4, v6
	v_mul_lo_u32 v6, s23, v48
	v_mul_lo_u32 v7, s22, v5
	v_mad_u64_u32 v[4:5], s[0:1], s22, v48, 0
	s_cselect_b64 s[24:25], -1, 0
	v_lshl_add_u64 v[2:3], v[2:3], 1, s[2:3]
	v_add3_u32 v5, v5, v7, v6
	v_lshl_add_u64 v[2:3], v[4:5], 1, v[2:3]
	v_cndmask_b32_e64 v4, 0, 1, s[24:25]
	s_mov_b32 s5, 0
	s_lshl_b64 s[2:3], s[16:17], 1
	s_lshl_b64 s[12:13], s[18:19], 1
	;; [unrolled: 1-line block ×4, first 2 shown]
	v_cmp_ne_u32_e64 s[0:1], 1, v4
	s_branch .LBB7_12
.LBB7_11:                               ;   in Loop: Header=BB7_12 Depth=1
	s_add_i32 s5, s5, 1
	v_lshl_add_u64 v[2:3], v[2:3], 0, s[2:3]
	s_cmp_eq_u32 s5, s4
	v_lshl_add_u64 v[0:1], v[0:1], 0, s[8:9]
	s_cbranch_scc1 .LBB7_14
.LBB7_12:                               ; =>This Loop Header: Depth=1
                                        ;     Child Loop BB7_13 Depth 2
	s_and_b64 vcc, exec, s[0:1]
	v_mov_b64_e32 v[4:5], v[0:1]
	v_mov_b64_e32 v[6:7], v[2:3]
	s_mov_b32 s7, s6
	s_cbranch_vccnz .LBB7_11
.LBB7_13:                               ;   Parent Loop BB7_12 Depth=1
                                        ; =>  This Inner Loop Header: Depth=2
	global_load_ushort v8, v[4:5], off
	s_add_i32 s7, s7, -1
	v_lshl_add_u64 v[4:5], v[4:5], 0, s[10:11]
	s_cmp_eq_u32 s7, 0
	s_waitcnt vmcnt(0)
	global_store_short v[6:7], v8, off
	v_lshl_add_u64 v[6:7], v[6:7], 0, s[12:13]
	s_cbranch_scc0 .LBB7_13
	s_branch .LBB7_11
.LBB7_14:
	s_endpgm
	.section	.rodata,"a",@progbits
	.p2align	6, 0x0
	.amdhsa_kernel _ZN2at6native12_GLOBAL__N_128upsample_bicubic2d_out_frameIN3c108BFloat16EfEEviT0_S5_bN5torch10headeronly6detail27GenericPackedTensorAccessorINS8_14TensorAccessorINS3_8ArrayRefIlEEKT_Lm3ENS7_16DefaultPtrTraitsElEENS_6detail16IndexBoundsCheckILm4ElEESE_Lm4ESF_lEENS9_INSA_ISC_SD_Lm3ESF_lEESJ_SD_Lm4ESF_lEE
		.amdhsa_group_segment_fixed_size 0
		.amdhsa_private_segment_fixed_size 0
		.amdhsa_kernarg_size 416
		.amdhsa_user_sgpr_count 2
		.amdhsa_user_sgpr_dispatch_ptr 0
		.amdhsa_user_sgpr_queue_ptr 0
		.amdhsa_user_sgpr_kernarg_segment_ptr 1
		.amdhsa_user_sgpr_dispatch_id 0
		.amdhsa_user_sgpr_kernarg_preload_length 0
		.amdhsa_user_sgpr_kernarg_preload_offset 0
		.amdhsa_user_sgpr_private_segment_size 0
		.amdhsa_uses_dynamic_stack 0
		.amdhsa_enable_private_segment 0
		.amdhsa_system_sgpr_workgroup_id_x 1
		.amdhsa_system_sgpr_workgroup_id_y 0
		.amdhsa_system_sgpr_workgroup_id_z 0
		.amdhsa_system_sgpr_workgroup_info 0
		.amdhsa_system_vgpr_workitem_id 0
		.amdhsa_next_free_vgpr 61
		.amdhsa_next_free_sgpr 32
		.amdhsa_accum_offset 64
		.amdhsa_reserve_vcc 1
		.amdhsa_float_round_mode_32 0
		.amdhsa_float_round_mode_16_64 0
		.amdhsa_float_denorm_mode_32 3
		.amdhsa_float_denorm_mode_16_64 3
		.amdhsa_dx10_clamp 1
		.amdhsa_ieee_mode 1
		.amdhsa_fp16_overflow 0
		.amdhsa_tg_split 0
		.amdhsa_exception_fp_ieee_invalid_op 0
		.amdhsa_exception_fp_denorm_src 0
		.amdhsa_exception_fp_ieee_div_zero 0
		.amdhsa_exception_fp_ieee_overflow 0
		.amdhsa_exception_fp_ieee_underflow 0
		.amdhsa_exception_fp_ieee_inexact 0
		.amdhsa_exception_int_div_zero 0
	.end_amdhsa_kernel
	.section	.text._ZN2at6native12_GLOBAL__N_128upsample_bicubic2d_out_frameIN3c108BFloat16EfEEviT0_S5_bN5torch10headeronly6detail27GenericPackedTensorAccessorINS8_14TensorAccessorINS3_8ArrayRefIlEEKT_Lm3ENS7_16DefaultPtrTraitsElEENS_6detail16IndexBoundsCheckILm4ElEESE_Lm4ESF_lEENS9_INSA_ISC_SD_Lm3ESF_lEESJ_SD_Lm4ESF_lEE,"axG",@progbits,_ZN2at6native12_GLOBAL__N_128upsample_bicubic2d_out_frameIN3c108BFloat16EfEEviT0_S5_bN5torch10headeronly6detail27GenericPackedTensorAccessorINS8_14TensorAccessorINS3_8ArrayRefIlEEKT_Lm3ENS7_16DefaultPtrTraitsElEENS_6detail16IndexBoundsCheckILm4ElEESE_Lm4ESF_lEENS9_INSA_ISC_SD_Lm3ESF_lEESJ_SD_Lm4ESF_lEE,comdat
.Lfunc_end7:
	.size	_ZN2at6native12_GLOBAL__N_128upsample_bicubic2d_out_frameIN3c108BFloat16EfEEviT0_S5_bN5torch10headeronly6detail27GenericPackedTensorAccessorINS8_14TensorAccessorINS3_8ArrayRefIlEEKT_Lm3ENS7_16DefaultPtrTraitsElEENS_6detail16IndexBoundsCheckILm4ElEESE_Lm4ESF_lEENS9_INSA_ISC_SD_Lm3ESF_lEESJ_SD_Lm4ESF_lEE, .Lfunc_end7-_ZN2at6native12_GLOBAL__N_128upsample_bicubic2d_out_frameIN3c108BFloat16EfEEviT0_S5_bN5torch10headeronly6detail27GenericPackedTensorAccessorINS8_14TensorAccessorINS3_8ArrayRefIlEEKT_Lm3ENS7_16DefaultPtrTraitsElEENS_6detail16IndexBoundsCheckILm4ElEESE_Lm4ESF_lEENS9_INSA_ISC_SD_Lm3ESF_lEESJ_SD_Lm4ESF_lEE
                                        ; -- End function
	.set _ZN2at6native12_GLOBAL__N_128upsample_bicubic2d_out_frameIN3c108BFloat16EfEEviT0_S5_bN5torch10headeronly6detail27GenericPackedTensorAccessorINS8_14TensorAccessorINS3_8ArrayRefIlEEKT_Lm3ENS7_16DefaultPtrTraitsElEENS_6detail16IndexBoundsCheckILm4ElEESE_Lm4ESF_lEENS9_INSA_ISC_SD_Lm3ESF_lEESJ_SD_Lm4ESF_lEE.num_vgpr, 61
	.set _ZN2at6native12_GLOBAL__N_128upsample_bicubic2d_out_frameIN3c108BFloat16EfEEviT0_S5_bN5torch10headeronly6detail27GenericPackedTensorAccessorINS8_14TensorAccessorINS3_8ArrayRefIlEEKT_Lm3ENS7_16DefaultPtrTraitsElEENS_6detail16IndexBoundsCheckILm4ElEESE_Lm4ESF_lEENS9_INSA_ISC_SD_Lm3ESF_lEESJ_SD_Lm4ESF_lEE.num_agpr, 0
	.set _ZN2at6native12_GLOBAL__N_128upsample_bicubic2d_out_frameIN3c108BFloat16EfEEviT0_S5_bN5torch10headeronly6detail27GenericPackedTensorAccessorINS8_14TensorAccessorINS3_8ArrayRefIlEEKT_Lm3ENS7_16DefaultPtrTraitsElEENS_6detail16IndexBoundsCheckILm4ElEESE_Lm4ESF_lEENS9_INSA_ISC_SD_Lm3ESF_lEESJ_SD_Lm4ESF_lEE.numbered_sgpr, 32
	.set _ZN2at6native12_GLOBAL__N_128upsample_bicubic2d_out_frameIN3c108BFloat16EfEEviT0_S5_bN5torch10headeronly6detail27GenericPackedTensorAccessorINS8_14TensorAccessorINS3_8ArrayRefIlEEKT_Lm3ENS7_16DefaultPtrTraitsElEENS_6detail16IndexBoundsCheckILm4ElEESE_Lm4ESF_lEENS9_INSA_ISC_SD_Lm3ESF_lEESJ_SD_Lm4ESF_lEE.num_named_barrier, 0
	.set _ZN2at6native12_GLOBAL__N_128upsample_bicubic2d_out_frameIN3c108BFloat16EfEEviT0_S5_bN5torch10headeronly6detail27GenericPackedTensorAccessorINS8_14TensorAccessorINS3_8ArrayRefIlEEKT_Lm3ENS7_16DefaultPtrTraitsElEENS_6detail16IndexBoundsCheckILm4ElEESE_Lm4ESF_lEENS9_INSA_ISC_SD_Lm3ESF_lEESJ_SD_Lm4ESF_lEE.private_seg_size, 0
	.set _ZN2at6native12_GLOBAL__N_128upsample_bicubic2d_out_frameIN3c108BFloat16EfEEviT0_S5_bN5torch10headeronly6detail27GenericPackedTensorAccessorINS8_14TensorAccessorINS3_8ArrayRefIlEEKT_Lm3ENS7_16DefaultPtrTraitsElEENS_6detail16IndexBoundsCheckILm4ElEESE_Lm4ESF_lEENS9_INSA_ISC_SD_Lm3ESF_lEESJ_SD_Lm4ESF_lEE.uses_vcc, 1
	.set _ZN2at6native12_GLOBAL__N_128upsample_bicubic2d_out_frameIN3c108BFloat16EfEEviT0_S5_bN5torch10headeronly6detail27GenericPackedTensorAccessorINS8_14TensorAccessorINS3_8ArrayRefIlEEKT_Lm3ENS7_16DefaultPtrTraitsElEENS_6detail16IndexBoundsCheckILm4ElEESE_Lm4ESF_lEENS9_INSA_ISC_SD_Lm3ESF_lEESJ_SD_Lm4ESF_lEE.uses_flat_scratch, 0
	.set _ZN2at6native12_GLOBAL__N_128upsample_bicubic2d_out_frameIN3c108BFloat16EfEEviT0_S5_bN5torch10headeronly6detail27GenericPackedTensorAccessorINS8_14TensorAccessorINS3_8ArrayRefIlEEKT_Lm3ENS7_16DefaultPtrTraitsElEENS_6detail16IndexBoundsCheckILm4ElEESE_Lm4ESF_lEENS9_INSA_ISC_SD_Lm3ESF_lEESJ_SD_Lm4ESF_lEE.has_dyn_sized_stack, 0
	.set _ZN2at6native12_GLOBAL__N_128upsample_bicubic2d_out_frameIN3c108BFloat16EfEEviT0_S5_bN5torch10headeronly6detail27GenericPackedTensorAccessorINS8_14TensorAccessorINS3_8ArrayRefIlEEKT_Lm3ENS7_16DefaultPtrTraitsElEENS_6detail16IndexBoundsCheckILm4ElEESE_Lm4ESF_lEENS9_INSA_ISC_SD_Lm3ESF_lEESJ_SD_Lm4ESF_lEE.has_recursion, 0
	.set _ZN2at6native12_GLOBAL__N_128upsample_bicubic2d_out_frameIN3c108BFloat16EfEEviT0_S5_bN5torch10headeronly6detail27GenericPackedTensorAccessorINS8_14TensorAccessorINS3_8ArrayRefIlEEKT_Lm3ENS7_16DefaultPtrTraitsElEENS_6detail16IndexBoundsCheckILm4ElEESE_Lm4ESF_lEENS9_INSA_ISC_SD_Lm3ESF_lEESJ_SD_Lm4ESF_lEE.has_indirect_call, 0
	.section	.AMDGPU.csdata,"",@progbits
; Kernel info:
; codeLenInByte = 2216
; TotalNumSgprs: 38
; NumVgprs: 61
; NumAgprs: 0
; TotalNumVgprs: 61
; ScratchSize: 0
; MemoryBound: 0
; FloatMode: 240
; IeeeMode: 1
; LDSByteSize: 0 bytes/workgroup (compile time only)
; SGPRBlocks: 4
; VGPRBlocks: 7
; NumSGPRsForWavesPerEU: 38
; NumVGPRsForWavesPerEU: 61
; AccumOffset: 64
; Occupancy: 8
; WaveLimiterHint : 1
; COMPUTE_PGM_RSRC2:SCRATCH_EN: 0
; COMPUTE_PGM_RSRC2:USER_SGPR: 2
; COMPUTE_PGM_RSRC2:TRAP_HANDLER: 0
; COMPUTE_PGM_RSRC2:TGID_X_EN: 1
; COMPUTE_PGM_RSRC2:TGID_Y_EN: 0
; COMPUTE_PGM_RSRC2:TGID_Z_EN: 0
; COMPUTE_PGM_RSRC2:TIDIG_COMP_CNT: 0
; COMPUTE_PGM_RSRC3_GFX90A:ACCUM_OFFSET: 15
; COMPUTE_PGM_RSRC3_GFX90A:TG_SPLIT: 0
	.section	.text._ZN2at6native12_GLOBAL__N_137upsample_bicubic2d_backward_out_frameIddEEviT0_S3_bN5torch10headeronly6detail27GenericPackedTensorAccessorINS6_14TensorAccessorIN3c108ArrayRefIlEET_Lm3ENS5_16DefaultPtrTraitsElEENS_6detail16IndexBoundsCheckILm4ElEESC_Lm4ESD_lEENS7_INS8_ISB_KSC_Lm3ESD_lEESH_SJ_Lm4ESD_lEE,"axG",@progbits,_ZN2at6native12_GLOBAL__N_137upsample_bicubic2d_backward_out_frameIddEEviT0_S3_bN5torch10headeronly6detail27GenericPackedTensorAccessorINS6_14TensorAccessorIN3c108ArrayRefIlEET_Lm3ENS5_16DefaultPtrTraitsElEENS_6detail16IndexBoundsCheckILm4ElEESC_Lm4ESD_lEENS7_INS8_ISB_KSC_Lm3ESD_lEESH_SJ_Lm4ESD_lEE,comdat
	.globl	_ZN2at6native12_GLOBAL__N_137upsample_bicubic2d_backward_out_frameIddEEviT0_S3_bN5torch10headeronly6detail27GenericPackedTensorAccessorINS6_14TensorAccessorIN3c108ArrayRefIlEET_Lm3ENS5_16DefaultPtrTraitsElEENS_6detail16IndexBoundsCheckILm4ElEESC_Lm4ESD_lEENS7_INS8_ISB_KSC_Lm3ESD_lEESH_SJ_Lm4ESD_lEE ; -- Begin function _ZN2at6native12_GLOBAL__N_137upsample_bicubic2d_backward_out_frameIddEEviT0_S3_bN5torch10headeronly6detail27GenericPackedTensorAccessorINS6_14TensorAccessorIN3c108ArrayRefIlEET_Lm3ENS5_16DefaultPtrTraitsElEENS_6detail16IndexBoundsCheckILm4ElEESC_Lm4ESD_lEENS7_INS8_ISB_KSC_Lm3ESD_lEESH_SJ_Lm4ESD_lEE
	.p2align	8
	.type	_ZN2at6native12_GLOBAL__N_137upsample_bicubic2d_backward_out_frameIddEEviT0_S3_bN5torch10headeronly6detail27GenericPackedTensorAccessorINS6_14TensorAccessorIN3c108ArrayRefIlEET_Lm3ENS5_16DefaultPtrTraitsElEENS_6detail16IndexBoundsCheckILm4ElEESC_Lm4ESD_lEENS7_INS8_ISB_KSC_Lm3ESD_lEESH_SJ_Lm4ESD_lEE,@function
_ZN2at6native12_GLOBAL__N_137upsample_bicubic2d_backward_out_frameIddEEviT0_S3_bN5torch10headeronly6detail27GenericPackedTensorAccessorINS6_14TensorAccessorIN3c108ArrayRefIlEET_Lm3ENS5_16DefaultPtrTraitsElEENS_6detail16IndexBoundsCheckILm4ElEESC_Lm4ESD_lEENS7_INS8_ISB_KSC_Lm3ESD_lEESH_SJ_Lm4ESD_lEE: ; @_ZN2at6native12_GLOBAL__N_137upsample_bicubic2d_backward_out_frameIddEEviT0_S3_bN5torch10headeronly6detail27GenericPackedTensorAccessorINS6_14TensorAccessorIN3c108ArrayRefIlEET_Lm3ENS5_16DefaultPtrTraitsElEENS_6detail16IndexBoundsCheckILm4ElEESC_Lm4ESD_lEENS7_INS8_ISB_KSC_Lm3ESD_lEESH_SJ_Lm4ESD_lEE
; %bb.0:
	s_load_dword s3, s[0:1], 0xbc
	s_load_dword s4, s[0:1], 0x0
	s_waitcnt lgkmcnt(0)
	s_and_b32 s3, s3, 0xffff
	s_mul_i32 s2, s2, s3
	v_add_u32_e32 v0, s2, v0
	v_cmp_gt_i32_e32 vcc, s4, v0
	s_and_saveexec_b64 s[2:3], vcc
	s_cbranch_execz .LBB8_14
; %bb.1:
	s_load_dwordx4 s[12:15], s[0:1], 0x80
	s_load_dwordx8 s[4:11], s[0:1], 0x28
	v_sub_u32_e32 v2, 0, v0
	v_max_i32_e32 v2, v0, v2
	s_waitcnt lgkmcnt(0)
	s_abs_i32 s13, s14
	v_cvt_f32_u32_e32 v1, s13
	s_sub_i32 s5, 0, s13
	v_xor_b32_e32 v3, s14, v0
	v_ashrrev_i32_e32 v3, 31, v3
	v_rcp_iflag_f32_e32 v1, v1
	s_cmp_lg_u32 s8, s12
	s_cselect_b64 s[2:3], -1, 0
	s_cmp_lg_u32 s10, s14
	v_mul_f32_e32 v1, 0x4f7ffffe, v1
	v_cvt_u32_f32_e32 v1, v1
	v_mul_lo_u32 v4, s5, v1
	v_mul_hi_u32 v4, v1, v4
	v_add_u32_e32 v1, v1, v4
	v_mul_hi_u32 v1, v2, v1
	v_mul_lo_u32 v4, v1, s13
	v_sub_u32_e32 v2, v2, v4
	v_add_u32_e32 v5, 1, v1
	v_cmp_le_u32_e32 vcc, s13, v2
	v_subrev_u32_e32 v4, s13, v2
	s_nop 0
	v_cndmask_b32_e32 v1, v1, v5, vcc
	v_cndmask_b32_e32 v2, v2, v4, vcc
	v_add_u32_e32 v4, 1, v1
	v_cmp_le_u32_e32 vcc, s13, v2
	s_cselect_b64 s[12:13], -1, 0
	s_or_b64 s[12:13], s[12:13], s[2:3]
	v_cndmask_b32_e32 v1, v1, v4, vcc
	v_xor_b32_e32 v1, v1, v3
	v_sub_u32_e32 v53, v1, v3
	v_mul_lo_u32 v1, v53, s14
	v_sub_u32_e32 v52, v0, v1
	s_mov_b64 s[2:3], -1
	s_and_b64 vcc, exec, s[12:13]
	s_cbranch_vccz .LBB8_8
; %bb.2:
	s_cmp_lt_i32 s4, 1
	s_cbranch_scc1 .LBB8_7
; %bb.3:
	s_load_dword s2, s[0:1], 0x18
	s_load_dwordx4 s[12:15], s[0:1], 0x8
	v_cvt_f64_i32_e32 v[0:1], v52
	v_add_f64 v[2:3], v[0:1], 0.5
	v_mov_b32_e32 v18, 0
	s_waitcnt lgkmcnt(0)
	s_bitcmp1_b32 s2, 0
	v_mul_f64 v[0:1], s[14:15], v[0:1]
	v_fma_f64 v[2:3], s[14:15], v[2:3], -0.5
	s_cselect_b64 vcc, -1, 0
	v_cndmask_b32_e32 v1, v3, v1, vcc
	v_cndmask_b32_e32 v0, v2, v0, vcc
	v_cvt_f32_f64_e32 v2, v[0:1]
	v_floor_f32_e32 v2, v2
	v_cvt_i32_f32_e32 v24, v2
	v_cvt_f64_i32_e32 v[2:3], v53
	v_mul_f64 v[4:5], s[12:13], v[2:3]
	v_add_f64 v[2:3], v[2:3], 0.5
	v_fma_f64 v[2:3], s[12:13], v[2:3], -0.5
	v_cndmask_b32_e32 v3, v3, v5, vcc
	v_cndmask_b32_e32 v2, v2, v4, vcc
	v_cvt_f32_f64_e32 v4, v[2:3]
	v_floor_f32_e32 v4, v4
	v_cvt_i32_f32_e32 v25, v4
	v_cvt_f64_i32_e32 v[4:5], v24
	v_add_f64 v[6:7], v[0:1], -v[4:5]
	v_mov_b32_e32 v19, 0xc0180000
	v_cvt_f64_i32_e32 v[0:1], v25
	v_add_f64 v[14:15], v[2:3], -v[0:1]
	v_mov_b32_e32 v0, 0
	v_add_f64 v[2:3], v[6:7], 1.0
	v_mov_b32_e32 v1, 0x400e0000
	v_fmac_f64_e32 v[0:1], 0xbfe80000, v[2:3]
	v_fma_f64 v[4:5], v[2:3], v[0:1], v[18:19]
	v_mov_b32_e32 v0, 0
	v_mov_b32_e32 v1, 0x40080000
	v_fma_f64 v[2:3], v[2:3], v[4:5], v[0:1]
	v_mov_b32_e32 v4, 0
	v_mov_b32_e32 v5, 0xc0020000
	v_fmac_f64_e32 v[4:5], 0x3ff40000, v[6:7]
	v_mul_f64 v[4:5], v[6:7], v[4:5]
	v_fma_f64 v[4:5], v[6:7], v[4:5], 1.0
	v_add_f64 v[8:9], -v[6:7], 1.0
	v_mov_b32_e32 v6, 0
	v_mov_b32_e32 v7, 0xc0020000
	v_fmac_f64_e32 v[6:7], 0x3ff40000, v[8:9]
	v_mul_f64 v[6:7], v[8:9], v[6:7]
	v_mov_b32_e32 v10, 0
	v_fma_f64 v[6:7], v[8:9], v[6:7], 1.0
	v_add_f64 v[8:9], v[8:9], 1.0
	v_mov_b32_e32 v11, 0x400e0000
	v_fmac_f64_e32 v[10:11], 0xbfe80000, v[8:9]
	v_fma_f64 v[10:11], v[8:9], v[10:11], v[18:19]
	v_mov_b32_e32 v12, 0
	v_fma_f64 v[8:9], v[8:9], v[10:11], v[0:1]
	v_add_f64 v[10:11], v[14:15], 1.0
	v_mov_b32_e32 v13, 0x400e0000
	v_fmac_f64_e32 v[12:13], 0xbfe80000, v[10:11]
	v_fma_f64 v[12:13], v[10:11], v[12:13], v[18:19]
	v_fma_f64 v[10:11], v[10:11], v[12:13], v[0:1]
	v_mov_b32_e32 v12, 0
	v_mov_b32_e32 v20, 0
	;; [unrolled: 1-line block ×4, first 2 shown]
	v_fmac_f64_e32 v[12:13], 0x3ff40000, v[14:15]
	v_add_f64 v[22:23], -v[14:15], 1.0
	s_load_dwordx8 s[12:19], s[0:1], 0x90
	v_mov_b32_e32 v16, 0
	v_mul_f64 v[12:13], v[14:15], v[12:13]
	v_fmac_f64_e32 v[20:21], 0x3ff40000, v[22:23]
	v_mov_b32_e32 v17, 0x400e0000
	v_fma_f64 v[12:13], v[14:15], v[12:13], 1.0
	v_mul_f64 v[14:15], v[22:23], v[20:21]
	v_add_f64 v[20:21], v[22:23], 1.0
	v_fmac_f64_e32 v[16:17], 0xbfe80000, v[20:21]
	s_load_dwordx8 s[20:27], s[0:1], 0x48
	s_load_dwordx2 s[30:31], s[0:1], 0x68
	v_fmac_f64_e32 v[18:19], v[20:21], v[16:17]
	v_ashrrev_i32_e32 v16, 31, v53
	v_fmac_f64_e32 v[0:1], v[20:21], v[18:19]
	s_waitcnt lgkmcnt(0)
	v_mul_lo_u32 v18, s17, v53
	v_mul_lo_u32 v19, s16, v16
	v_mad_u64_u32 v[16:17], s[16:17], s16, v53, 0
	v_add3_u32 v17, v17, v19, v18
	v_ashrrev_i32_e32 v18, 31, v52
	v_mul_lo_u32 v20, s19, v52
	v_mul_lo_u32 v21, s18, v18
	v_mad_u64_u32 v[18:19], s[16:17], s18, v52, 0
	s_cmp_gt_i32 s6, 0
	v_lshl_add_u64 v[16:17], v[16:17], 3, s[30:31]
	v_add3_u32 v19, v19, v21, v20
	s_cselect_b64 s[28:29], -1, 0
	v_lshl_add_u64 v[16:17], v[18:19], 3, v[16:17]
	v_add_u32_e32 v18, -1, v25
	s_add_i32 s7, s8, -1
	v_add_u32_e32 v19, -1, v24
	s_add_i32 s8, s10, -1
	v_min_i32_e32 v18, s7, v18
	v_max_i32_e32 v21, 0, v18
	v_min_i32_e32 v18, s8, v19
	v_fma_f64 v[14:15], v[22:23], v[14:15], 1.0
	v_max_i32_e32 v22, 0, v18
	v_min_i32_e32 v18, s8, v24
	v_max_i32_e32 v23, 0, v18
	v_add_u32_e32 v18, 1, v24
	v_min_i32_e32 v18, s8, v18
	v_max_i32_e32 v27, 0, v18
	v_add_u32_e32 v18, 2, v24
	v_min_i32_e32 v18, s8, v18
	v_max_i32_e32 v29, 0, v18
	v_min_i32_e32 v18, s7, v25
	v_max_i32_e32 v30, 0, v18
	v_add_u32_e32 v18, 1, v25
	v_min_i32_e32 v18, s7, v18
	v_max_i32_e32 v37, 0, v18
	v_add_u32_e32 v18, 2, v25
	v_min_i32_e32 v18, s7, v18
	v_max_i32_e32 v55, 0, v18
	v_mad_u64_u32 v[18:19], s[8:9], s24, v21, 0
	v_mov_b32_e32 v20, v19
	v_mad_u64_u32 v[20:21], s[8:9], s25, v21, v[20:21]
	v_mov_b32_e32 v19, v20
	v_lshlrev_b64 v[24:25], 3, v[18:19]
	v_mad_u64_u32 v[18:19], s[8:9], s26, v22, 0
	v_mov_b32_e32 v20, v19
	v_mad_u64_u32 v[20:21], s[8:9], s27, v22, v[20:21]
	v_mov_b32_e32 v19, v20
	;; [unrolled: 2-line block ×8, first 2 shown]
	v_lshlrev_b64 v[48:49], 3, v[26:27]
	v_mad_u64_u32 v[26:27], s[16:17], s24, v30, 0
	v_mad_u64_u32 v[34:35], s[16:17], s24, v37, 0
	;; [unrolled: 1-line block ×3, first 2 shown]
	s_load_dwordx2 s[2:3], s[0:1], 0x20
	v_mov_b32_e32 v28, v27
	v_mov_b32_e32 v36, v35
	;; [unrolled: 1-line block ×3, first 2 shown]
	v_mad_u64_u32 v[28:29], s[16:17], s25, v30, v[28:29]
	v_mad_u64_u32 v[36:37], s[16:17], s25, v37, v[36:37]
	;; [unrolled: 1-line block ×3, first 2 shown]
	v_mov_b32_e32 v27, v28
	v_mov_b32_e32 v35, v36
	;; [unrolled: 1-line block ×3, first 2 shown]
	v_lshlrev_b64 v[42:43], 3, v[18:19]
	v_lshlrev_b64 v[44:45], 3, v[20:21]
	;; [unrolled: 1-line block ×6, first 2 shown]
	s_mov_b32 s5, 0
	v_lshl_add_u64 v[18:19], v[24:25], 0, v[42:43]
	s_lshl_b64 s[8:9], s[20:21], 3
	s_lshl_b64 s[10:11], s[22:23], 3
	v_lshl_add_u64 v[20:21], v[44:45], 0, v[24:25]
	v_lshl_add_u64 v[22:23], v[24:25], 0, v[46:47]
	;; [unrolled: 1-line block ×15, first 2 shown]
	s_lshl_b64 s[12:13], s[12:13], 3
	s_lshl_b64 s[14:15], s[14:15], 3
	s_branch .LBB8_5
.LBB8_4:                                ;   in Loop: Header=BB8_5 Depth=1
	s_add_i32 s5, s5, 1
	s_add_u32 s2, s2, s8
	s_addc_u32 s3, s3, s9
	s_cmp_eq_u32 s5, s4
	v_lshl_add_u64 v[16:17], v[16:17], 0, s[12:13]
	s_cbranch_scc1 .LBB8_7
.LBB8_5:                                ; =>This Loop Header: Depth=1
                                        ;     Child Loop BB8_6 Depth 2
	s_andn2_b64 vcc, exec, s[28:29]
	v_mov_b64_e32 v[50:51], v[16:17]
	s_waitcnt lgkmcnt(0)
	s_mov_b64 s[16:17], s[2:3]
	s_mov_b32 s7, s6
	s_cbranch_vccnz .LBB8_4
.LBB8_6:                                ;   Parent Loop BB8_5 Depth=1
                                        ; =>  This Inner Loop Header: Depth=2
	global_load_dwordx2 v[54:55], v[50:51], off
	v_lshl_add_u64 v[56:57], s[16:17], 0, v[18:19]
	s_add_i32 s7, s7, -1
	v_lshl_add_u64 v[50:51], v[50:51], 0, s[14:15]
	s_waitcnt vmcnt(0)
	v_mul_f64 v[58:59], v[54:55], v[10:11]
	v_mul_f64 v[60:61], v[58:59], v[2:3]
	global_atomic_add_f64 v[56:57], v[60:61], off
	v_lshl_add_u64 v[56:57], s[16:17], 0, v[20:21]
	v_mul_f64 v[60:61], v[58:59], v[4:5]
	global_atomic_add_f64 v[56:57], v[60:61], off
	v_lshl_add_u64 v[56:57], s[16:17], 0, v[22:23]
	v_mul_f64 v[60:61], v[58:59], v[6:7]
	global_atomic_add_f64 v[56:57], v[60:61], off
	v_mul_f64 v[56:57], v[58:59], v[8:9]
	v_lshl_add_u64 v[58:59], s[16:17], 0, v[24:25]
	global_atomic_add_f64 v[58:59], v[56:57], off
	v_mul_f64 v[58:59], v[54:55], v[12:13]
	v_lshl_add_u64 v[56:57], s[16:17], 0, v[26:27]
	v_mul_f64 v[60:61], v[58:59], v[2:3]
	global_atomic_add_f64 v[56:57], v[60:61], off
	v_lshl_add_u64 v[56:57], s[16:17], 0, v[28:29]
	v_mul_f64 v[60:61], v[58:59], v[4:5]
	global_atomic_add_f64 v[56:57], v[60:61], off
	;; [unrolled: 3-line block ×3, first 2 shown]
	v_mul_f64 v[56:57], v[58:59], v[8:9]
	v_lshl_add_u64 v[58:59], s[16:17], 0, v[32:33]
	global_atomic_add_f64 v[58:59], v[56:57], off
	v_mul_f64 v[58:59], v[54:55], v[14:15]
	v_lshl_add_u64 v[56:57], s[16:17], 0, v[34:35]
	v_mul_f64 v[60:61], v[58:59], v[2:3]
	global_atomic_add_f64 v[56:57], v[60:61], off
	v_lshl_add_u64 v[56:57], s[16:17], 0, v[36:37]
	v_mul_f64 v[60:61], v[58:59], v[4:5]
	global_atomic_add_f64 v[56:57], v[60:61], off
	v_lshl_add_u64 v[56:57], s[16:17], 0, v[38:39]
	v_mul_f64 v[60:61], v[58:59], v[6:7]
	global_atomic_add_f64 v[56:57], v[60:61], off
	v_mul_f64 v[56:57], v[58:59], v[8:9]
	v_lshl_add_u64 v[58:59], s[16:17], 0, v[40:41]
	v_mul_f64 v[54:55], v[54:55], v[0:1]
	global_atomic_add_f64 v[58:59], v[56:57], off
	v_lshl_add_u64 v[56:57], s[16:17], 0, v[42:43]
	v_mul_f64 v[58:59], v[54:55], v[2:3]
	global_atomic_add_f64 v[56:57], v[58:59], off
	;; [unrolled: 3-line block ×4, first 2 shown]
	v_mul_f64 v[54:55], v[54:55], v[8:9]
	v_lshl_add_u64 v[56:57], s[16:17], 0, v[48:49]
	global_atomic_add_f64 v[56:57], v[54:55], off
	s_add_u32 s16, s16, s10
	s_addc_u32 s17, s17, s11
	s_cmp_eq_u32 s7, 0
	s_cbranch_scc0 .LBB8_6
	s_branch .LBB8_4
.LBB8_7:
	s_mov_b64 s[2:3], 0
.LBB8_8:
	s_andn2_b64 vcc, exec, s[2:3]
	s_cbranch_vccnz .LBB8_14
; %bb.9:
	s_cmp_lt_i32 s4, 1
	s_cbranch_scc1 .LBB8_14
; %bb.10:
	s_load_dwordx8 s[12:19], s[0:1], 0x90
	s_load_dwordx2 s[2:3], s[0:1], 0x20
	s_load_dwordx8 s[20:27], s[0:1], 0x48
	s_load_dwordx2 s[8:9], s[0:1], 0x68
	v_ashrrev_i32_e32 v4, 31, v53
	s_waitcnt lgkmcnt(0)
	v_mul_lo_u32 v2, s17, v53
	v_mul_lo_u32 v3, s16, v4
	v_mad_u64_u32 v[0:1], s[0:1], s16, v53, 0
	v_ashrrev_i32_e32 v5, 31, v52
	v_add3_u32 v1, v1, v3, v2
	v_mul_lo_u32 v6, s19, v52
	v_mul_lo_u32 v7, s18, v5
	v_mad_u64_u32 v[2:3], s[0:1], s18, v52, 0
	v_lshl_add_u64 v[0:1], v[0:1], 3, s[8:9]
	v_add3_u32 v3, v3, v7, v6
	v_lshl_add_u64 v[0:1], v[2:3], 3, v[0:1]
	v_mul_lo_u32 v6, s25, v53
	v_mul_lo_u32 v4, s24, v4
	v_mad_u64_u32 v[2:3], s[0:1], s24, v53, 0
	s_cmp_gt_i32 s6, 0
	v_add3_u32 v3, v3, v4, v6
	v_mul_lo_u32 v6, s27, v52
	v_mul_lo_u32 v7, s26, v5
	v_mad_u64_u32 v[4:5], s[0:1], s26, v52, 0
	s_cselect_b64 s[28:29], -1, 0
	v_lshl_add_u64 v[2:3], v[2:3], 3, s[2:3]
	v_add3_u32 v5, v5, v7, v6
	v_lshl_add_u64 v[2:3], v[4:5], 3, v[2:3]
	v_cndmask_b32_e64 v4, 0, 1, s[28:29]
	s_mov_b32 s5, 0
	s_lshl_b64 s[2:3], s[20:21], 3
	s_lshl_b64 s[8:9], s[22:23], 3
	;; [unrolled: 1-line block ×4, first 2 shown]
	v_cmp_ne_u32_e64 s[0:1], 1, v4
	s_branch .LBB8_12
.LBB8_11:                               ;   in Loop: Header=BB8_12 Depth=1
	s_add_i32 s5, s5, 1
	v_lshl_add_u64 v[2:3], v[2:3], 0, s[2:3]
	s_cmp_eq_u32 s5, s4
	v_lshl_add_u64 v[0:1], v[0:1], 0, s[10:11]
	s_cbranch_scc1 .LBB8_14
.LBB8_12:                               ; =>This Loop Header: Depth=1
                                        ;     Child Loop BB8_13 Depth 2
	s_and_b64 vcc, exec, s[0:1]
	v_mov_b64_e32 v[4:5], v[0:1]
	v_mov_b64_e32 v[6:7], v[2:3]
	s_mov_b32 s7, s6
	s_cbranch_vccnz .LBB8_11
.LBB8_13:                               ;   Parent Loop BB8_12 Depth=1
                                        ; =>  This Inner Loop Header: Depth=2
	global_load_dwordx2 v[8:9], v[4:5], off
	s_add_i32 s7, s7, -1
	v_lshl_add_u64 v[4:5], v[4:5], 0, s[12:13]
	s_cmp_eq_u32 s7, 0
	s_waitcnt vmcnt(0)
	global_store_dwordx2 v[6:7], v[8:9], off
	v_lshl_add_u64 v[6:7], v[6:7], 0, s[8:9]
	s_cbranch_scc0 .LBB8_13
	s_branch .LBB8_11
.LBB8_14:
	s_endpgm
	.section	.rodata,"a",@progbits
	.p2align	6, 0x0
	.amdhsa_kernel _ZN2at6native12_GLOBAL__N_137upsample_bicubic2d_backward_out_frameIddEEviT0_S3_bN5torch10headeronly6detail27GenericPackedTensorAccessorINS6_14TensorAccessorIN3c108ArrayRefIlEET_Lm3ENS5_16DefaultPtrTraitsElEENS_6detail16IndexBoundsCheckILm4ElEESC_Lm4ESD_lEENS7_INS8_ISB_KSC_Lm3ESD_lEESH_SJ_Lm4ESD_lEE
		.amdhsa_group_segment_fixed_size 0
		.amdhsa_private_segment_fixed_size 0
		.amdhsa_kernarg_size 432
		.amdhsa_user_sgpr_count 2
		.amdhsa_user_sgpr_dispatch_ptr 0
		.amdhsa_user_sgpr_queue_ptr 0
		.amdhsa_user_sgpr_kernarg_segment_ptr 1
		.amdhsa_user_sgpr_dispatch_id 0
		.amdhsa_user_sgpr_kernarg_preload_length 0
		.amdhsa_user_sgpr_kernarg_preload_offset 0
		.amdhsa_user_sgpr_private_segment_size 0
		.amdhsa_uses_dynamic_stack 0
		.amdhsa_enable_private_segment 0
		.amdhsa_system_sgpr_workgroup_id_x 1
		.amdhsa_system_sgpr_workgroup_id_y 0
		.amdhsa_system_sgpr_workgroup_id_z 0
		.amdhsa_system_sgpr_workgroup_info 0
		.amdhsa_system_vgpr_workitem_id 0
		.amdhsa_next_free_vgpr 62
		.amdhsa_next_free_sgpr 32
		.amdhsa_accum_offset 64
		.amdhsa_reserve_vcc 1
		.amdhsa_float_round_mode_32 0
		.amdhsa_float_round_mode_16_64 0
		.amdhsa_float_denorm_mode_32 3
		.amdhsa_float_denorm_mode_16_64 3
		.amdhsa_dx10_clamp 1
		.amdhsa_ieee_mode 1
		.amdhsa_fp16_overflow 0
		.amdhsa_tg_split 0
		.amdhsa_exception_fp_ieee_invalid_op 0
		.amdhsa_exception_fp_denorm_src 0
		.amdhsa_exception_fp_ieee_div_zero 0
		.amdhsa_exception_fp_ieee_overflow 0
		.amdhsa_exception_fp_ieee_underflow 0
		.amdhsa_exception_fp_ieee_inexact 0
		.amdhsa_exception_int_div_zero 0
	.end_amdhsa_kernel
	.section	.text._ZN2at6native12_GLOBAL__N_137upsample_bicubic2d_backward_out_frameIddEEviT0_S3_bN5torch10headeronly6detail27GenericPackedTensorAccessorINS6_14TensorAccessorIN3c108ArrayRefIlEET_Lm3ENS5_16DefaultPtrTraitsElEENS_6detail16IndexBoundsCheckILm4ElEESC_Lm4ESD_lEENS7_INS8_ISB_KSC_Lm3ESD_lEESH_SJ_Lm4ESD_lEE,"axG",@progbits,_ZN2at6native12_GLOBAL__N_137upsample_bicubic2d_backward_out_frameIddEEviT0_S3_bN5torch10headeronly6detail27GenericPackedTensorAccessorINS6_14TensorAccessorIN3c108ArrayRefIlEET_Lm3ENS5_16DefaultPtrTraitsElEENS_6detail16IndexBoundsCheckILm4ElEESC_Lm4ESD_lEENS7_INS8_ISB_KSC_Lm3ESD_lEESH_SJ_Lm4ESD_lEE,comdat
.Lfunc_end8:
	.size	_ZN2at6native12_GLOBAL__N_137upsample_bicubic2d_backward_out_frameIddEEviT0_S3_bN5torch10headeronly6detail27GenericPackedTensorAccessorINS6_14TensorAccessorIN3c108ArrayRefIlEET_Lm3ENS5_16DefaultPtrTraitsElEENS_6detail16IndexBoundsCheckILm4ElEESC_Lm4ESD_lEENS7_INS8_ISB_KSC_Lm3ESD_lEESH_SJ_Lm4ESD_lEE, .Lfunc_end8-_ZN2at6native12_GLOBAL__N_137upsample_bicubic2d_backward_out_frameIddEEviT0_S3_bN5torch10headeronly6detail27GenericPackedTensorAccessorINS6_14TensorAccessorIN3c108ArrayRefIlEET_Lm3ENS5_16DefaultPtrTraitsElEENS_6detail16IndexBoundsCheckILm4ElEESC_Lm4ESD_lEENS7_INS8_ISB_KSC_Lm3ESD_lEESH_SJ_Lm4ESD_lEE
                                        ; -- End function
	.set _ZN2at6native12_GLOBAL__N_137upsample_bicubic2d_backward_out_frameIddEEviT0_S3_bN5torch10headeronly6detail27GenericPackedTensorAccessorINS6_14TensorAccessorIN3c108ArrayRefIlEET_Lm3ENS5_16DefaultPtrTraitsElEENS_6detail16IndexBoundsCheckILm4ElEESC_Lm4ESD_lEENS7_INS8_ISB_KSC_Lm3ESD_lEESH_SJ_Lm4ESD_lEE.num_vgpr, 62
	.set _ZN2at6native12_GLOBAL__N_137upsample_bicubic2d_backward_out_frameIddEEviT0_S3_bN5torch10headeronly6detail27GenericPackedTensorAccessorINS6_14TensorAccessorIN3c108ArrayRefIlEET_Lm3ENS5_16DefaultPtrTraitsElEENS_6detail16IndexBoundsCheckILm4ElEESC_Lm4ESD_lEENS7_INS8_ISB_KSC_Lm3ESD_lEESH_SJ_Lm4ESD_lEE.num_agpr, 0
	.set _ZN2at6native12_GLOBAL__N_137upsample_bicubic2d_backward_out_frameIddEEviT0_S3_bN5torch10headeronly6detail27GenericPackedTensorAccessorINS6_14TensorAccessorIN3c108ArrayRefIlEET_Lm3ENS5_16DefaultPtrTraitsElEENS_6detail16IndexBoundsCheckILm4ElEESC_Lm4ESD_lEENS7_INS8_ISB_KSC_Lm3ESD_lEESH_SJ_Lm4ESD_lEE.numbered_sgpr, 32
	.set _ZN2at6native12_GLOBAL__N_137upsample_bicubic2d_backward_out_frameIddEEviT0_S3_bN5torch10headeronly6detail27GenericPackedTensorAccessorINS6_14TensorAccessorIN3c108ArrayRefIlEET_Lm3ENS5_16DefaultPtrTraitsElEENS_6detail16IndexBoundsCheckILm4ElEESC_Lm4ESD_lEENS7_INS8_ISB_KSC_Lm3ESD_lEESH_SJ_Lm4ESD_lEE.num_named_barrier, 0
	.set _ZN2at6native12_GLOBAL__N_137upsample_bicubic2d_backward_out_frameIddEEviT0_S3_bN5torch10headeronly6detail27GenericPackedTensorAccessorINS6_14TensorAccessorIN3c108ArrayRefIlEET_Lm3ENS5_16DefaultPtrTraitsElEENS_6detail16IndexBoundsCheckILm4ElEESC_Lm4ESD_lEENS7_INS8_ISB_KSC_Lm3ESD_lEESH_SJ_Lm4ESD_lEE.private_seg_size, 0
	.set _ZN2at6native12_GLOBAL__N_137upsample_bicubic2d_backward_out_frameIddEEviT0_S3_bN5torch10headeronly6detail27GenericPackedTensorAccessorINS6_14TensorAccessorIN3c108ArrayRefIlEET_Lm3ENS5_16DefaultPtrTraitsElEENS_6detail16IndexBoundsCheckILm4ElEESC_Lm4ESD_lEENS7_INS8_ISB_KSC_Lm3ESD_lEESH_SJ_Lm4ESD_lEE.uses_vcc, 1
	.set _ZN2at6native12_GLOBAL__N_137upsample_bicubic2d_backward_out_frameIddEEviT0_S3_bN5torch10headeronly6detail27GenericPackedTensorAccessorINS6_14TensorAccessorIN3c108ArrayRefIlEET_Lm3ENS5_16DefaultPtrTraitsElEENS_6detail16IndexBoundsCheckILm4ElEESC_Lm4ESD_lEENS7_INS8_ISB_KSC_Lm3ESD_lEESH_SJ_Lm4ESD_lEE.uses_flat_scratch, 0
	.set _ZN2at6native12_GLOBAL__N_137upsample_bicubic2d_backward_out_frameIddEEviT0_S3_bN5torch10headeronly6detail27GenericPackedTensorAccessorINS6_14TensorAccessorIN3c108ArrayRefIlEET_Lm3ENS5_16DefaultPtrTraitsElEENS_6detail16IndexBoundsCheckILm4ElEESC_Lm4ESD_lEENS7_INS8_ISB_KSC_Lm3ESD_lEESH_SJ_Lm4ESD_lEE.has_dyn_sized_stack, 0
	.set _ZN2at6native12_GLOBAL__N_137upsample_bicubic2d_backward_out_frameIddEEviT0_S3_bN5torch10headeronly6detail27GenericPackedTensorAccessorINS6_14TensorAccessorIN3c108ArrayRefIlEET_Lm3ENS5_16DefaultPtrTraitsElEENS_6detail16IndexBoundsCheckILm4ElEESC_Lm4ESD_lEENS7_INS8_ISB_KSC_Lm3ESD_lEESH_SJ_Lm4ESD_lEE.has_recursion, 0
	.set _ZN2at6native12_GLOBAL__N_137upsample_bicubic2d_backward_out_frameIddEEviT0_S3_bN5torch10headeronly6detail27GenericPackedTensorAccessorINS6_14TensorAccessorIN3c108ArrayRefIlEET_Lm3ENS5_16DefaultPtrTraitsElEENS_6detail16IndexBoundsCheckILm4ElEESC_Lm4ESD_lEENS7_INS8_ISB_KSC_Lm3ESD_lEESH_SJ_Lm4ESD_lEE.has_indirect_call, 0
	.section	.AMDGPU.csdata,"",@progbits
; Kernel info:
; codeLenInByte = 2272
; TotalNumSgprs: 38
; NumVgprs: 62
; NumAgprs: 0
; TotalNumVgprs: 62
; ScratchSize: 0
; MemoryBound: 0
; FloatMode: 240
; IeeeMode: 1
; LDSByteSize: 0 bytes/workgroup (compile time only)
; SGPRBlocks: 4
; VGPRBlocks: 7
; NumSGPRsForWavesPerEU: 38
; NumVGPRsForWavesPerEU: 62
; AccumOffset: 64
; Occupancy: 8
; WaveLimiterHint : 1
; COMPUTE_PGM_RSRC2:SCRATCH_EN: 0
; COMPUTE_PGM_RSRC2:USER_SGPR: 2
; COMPUTE_PGM_RSRC2:TRAP_HANDLER: 0
; COMPUTE_PGM_RSRC2:TGID_X_EN: 1
; COMPUTE_PGM_RSRC2:TGID_Y_EN: 0
; COMPUTE_PGM_RSRC2:TGID_Z_EN: 0
; COMPUTE_PGM_RSRC2:TIDIG_COMP_CNT: 0
; COMPUTE_PGM_RSRC3_GFX90A:ACCUM_OFFSET: 15
; COMPUTE_PGM_RSRC3_GFX90A:TG_SPLIT: 0
	.section	.text._ZN2at6native12_GLOBAL__N_137upsample_bicubic2d_backward_out_frameIffEEviT0_S3_bN5torch10headeronly6detail27GenericPackedTensorAccessorINS6_14TensorAccessorIN3c108ArrayRefIlEET_Lm3ENS5_16DefaultPtrTraitsElEENS_6detail16IndexBoundsCheckILm4ElEESC_Lm4ESD_lEENS7_INS8_ISB_KSC_Lm3ESD_lEESH_SJ_Lm4ESD_lEE,"axG",@progbits,_ZN2at6native12_GLOBAL__N_137upsample_bicubic2d_backward_out_frameIffEEviT0_S3_bN5torch10headeronly6detail27GenericPackedTensorAccessorINS6_14TensorAccessorIN3c108ArrayRefIlEET_Lm3ENS5_16DefaultPtrTraitsElEENS_6detail16IndexBoundsCheckILm4ElEESC_Lm4ESD_lEENS7_INS8_ISB_KSC_Lm3ESD_lEESH_SJ_Lm4ESD_lEE,comdat
	.globl	_ZN2at6native12_GLOBAL__N_137upsample_bicubic2d_backward_out_frameIffEEviT0_S3_bN5torch10headeronly6detail27GenericPackedTensorAccessorINS6_14TensorAccessorIN3c108ArrayRefIlEET_Lm3ENS5_16DefaultPtrTraitsElEENS_6detail16IndexBoundsCheckILm4ElEESC_Lm4ESD_lEENS7_INS8_ISB_KSC_Lm3ESD_lEESH_SJ_Lm4ESD_lEE ; -- Begin function _ZN2at6native12_GLOBAL__N_137upsample_bicubic2d_backward_out_frameIffEEviT0_S3_bN5torch10headeronly6detail27GenericPackedTensorAccessorINS6_14TensorAccessorIN3c108ArrayRefIlEET_Lm3ENS5_16DefaultPtrTraitsElEENS_6detail16IndexBoundsCheckILm4ElEESC_Lm4ESD_lEENS7_INS8_ISB_KSC_Lm3ESD_lEESH_SJ_Lm4ESD_lEE
	.p2align	8
	.type	_ZN2at6native12_GLOBAL__N_137upsample_bicubic2d_backward_out_frameIffEEviT0_S3_bN5torch10headeronly6detail27GenericPackedTensorAccessorINS6_14TensorAccessorIN3c108ArrayRefIlEET_Lm3ENS5_16DefaultPtrTraitsElEENS_6detail16IndexBoundsCheckILm4ElEESC_Lm4ESD_lEENS7_INS8_ISB_KSC_Lm3ESD_lEESH_SJ_Lm4ESD_lEE,@function
_ZN2at6native12_GLOBAL__N_137upsample_bicubic2d_backward_out_frameIffEEviT0_S3_bN5torch10headeronly6detail27GenericPackedTensorAccessorINS6_14TensorAccessorIN3c108ArrayRefIlEET_Lm3ENS5_16DefaultPtrTraitsElEENS_6detail16IndexBoundsCheckILm4ElEESC_Lm4ESD_lEENS7_INS8_ISB_KSC_Lm3ESD_lEESH_SJ_Lm4ESD_lEE: ; @_ZN2at6native12_GLOBAL__N_137upsample_bicubic2d_backward_out_frameIffEEviT0_S3_bN5torch10headeronly6detail27GenericPackedTensorAccessorINS6_14TensorAccessorIN3c108ArrayRefIlEET_Lm3ENS5_16DefaultPtrTraitsElEENS_6detail16IndexBoundsCheckILm4ElEESC_Lm4ESD_lEENS7_INS8_ISB_KSC_Lm3ESD_lEESH_SJ_Lm4ESD_lEE
; %bb.0:
	s_load_dword s3, s[0:1], 0xac
	s_load_dwordx4 s[12:15], s[0:1], 0x0
	s_waitcnt lgkmcnt(0)
	s_and_b32 s3, s3, 0xffff
	s_mul_i32 s2, s2, s3
	v_add_u32_e32 v0, s2, v0
	v_cmp_gt_i32_e32 vcc, s12, v0
	s_and_saveexec_b64 s[2:3], vcc
	s_cbranch_execz .LBB9_14
; %bb.1:
	s_load_dwordx4 s[16:19], s[0:1], 0x70
	s_load_dwordx8 s[4:11], s[0:1], 0x18
	v_sub_u32_e32 v2, 0, v0
	v_max_i32_e32 v2, v0, v2
	s_waitcnt lgkmcnt(0)
	s_abs_i32 s12, s18
	v_cvt_f32_u32_e32 v1, s12
	s_sub_i32 s5, 0, s12
	v_xor_b32_e32 v3, s18, v0
	v_ashrrev_i32_e32 v3, 31, v3
	v_rcp_iflag_f32_e32 v1, v1
	s_cmp_lg_u32 s8, s16
	s_cselect_b64 s[2:3], -1, 0
	s_cmp_lg_u32 s10, s18
	v_mul_f32_e32 v1, 0x4f7ffffe, v1
	v_cvt_u32_f32_e32 v1, v1
	s_cselect_b64 s[16:17], -1, 0
	s_or_b64 s[16:17], s[16:17], s[2:3]
	s_mov_b64 s[2:3], -1
	v_mul_lo_u32 v4, s5, v1
	v_mul_hi_u32 v4, v1, v4
	v_add_u32_e32 v1, v1, v4
	v_mul_hi_u32 v1, v2, v1
	v_mul_lo_u32 v4, v1, s12
	v_sub_u32_e32 v2, v2, v4
	v_add_u32_e32 v5, 1, v1
	v_cmp_le_u32_e32 vcc, s12, v2
	v_subrev_u32_e32 v4, s12, v2
	s_nop 0
	v_cndmask_b32_e32 v1, v1, v5, vcc
	v_cndmask_b32_e32 v2, v2, v4, vcc
	v_add_u32_e32 v4, 1, v1
	v_cmp_le_u32_e32 vcc, s12, v2
	s_nop 1
	v_cndmask_b32_e32 v1, v1, v4, vcc
	v_xor_b32_e32 v1, v1, v3
	v_sub_u32_e32 v37, v1, v3
	v_mul_lo_u32 v1, v37, s18
	v_sub_u32_e32 v36, v0, v1
	s_and_b64 vcc, exec, s[16:17]
	s_cbranch_vccz .LBB9_8
; %bb.2:
	s_cmp_lt_i32 s4, 1
	s_cbranch_scc1 .LBB9_7
; %bb.3:
	v_cvt_f32_i32_e32 v0, v36
	s_bitcmp1_b32 s15, 0
	v_cvt_f32_i32_e32 v1, v37
	s_cselect_b64 vcc, -1, 0
	v_mul_f32_e32 v2, s14, v0
	v_add_f32_e32 v0, 0.5, v0
	v_fma_f32 v0, s14, v0, -0.5
	v_cndmask_b32_e32 v0, v0, v2, vcc
	v_floor_f32_e32 v2, v0
	v_cvt_i32_f32_e32 v4, v2
	v_mul_f32_e32 v2, s13, v1
	v_add_f32_e32 v1, 0.5, v1
	v_fma_f32 v1, s13, v1, -0.5
	v_cndmask_b32_e32 v1, v1, v2, vcc
	v_floor_f32_e32 v2, v1
	v_cvt_i32_f32_e32 v5, v2
	v_cvt_f32_i32_e32 v2, v4
	v_mov_b32_e32 v7, 0xc0c00000
	v_mov_b32_e32 v38, 0x40400000
	v_cvt_f32_i32_e32 v3, v5
	v_sub_f32_e32 v0, v0, v2
	v_add_f32_e32 v2, 1.0, v0
	s_load_dwordx8 s[12:19], s[0:1], 0x80
	s_load_dwordx2 s[28:29], s[0:1], 0x10
	s_load_dwordx8 s[20:27], s[0:1], 0x38
	s_load_dwordx2 s[30:31], s[0:1], 0x58
	v_sub_f32_e32 v1, v1, v3
	v_mov_b32_e32 v3, 0x40700000
	v_fmamk_f32 v6, v2, 0xbf400000, v3
	v_fmaak_f32 v6, v2, v6, 0xc0c00000
	v_fmaak_f32 v39, v2, v6, 0x40400000
	v_mov_b32_e32 v2, 0xc0100000
	v_fmamk_f32 v6, v0, 0x3fa00000, v2
	v_mul_f32_e32 v6, v0, v6
	v_fma_f32 v40, v0, v6, 1.0
	v_sub_f32_e32 v0, 1.0, v0
	v_fmamk_f32 v6, v0, 0x3fa00000, v2
	v_mul_f32_e32 v6, v0, v6
	v_fma_f32 v41, v0, v6, 1.0
	v_add_f32_e32 v0, 1.0, v0
	v_fmamk_f32 v6, v0, 0xbf400000, v3
	v_fmaak_f32 v6, v0, v6, 0xc0c00000
	v_fmaak_f32 v42, v0, v6, 0x40400000
	v_add_f32_e32 v0, 1.0, v1
	v_fmamk_f32 v6, v0, 0xbf400000, v3
	v_fmaak_f32 v6, v0, v6, 0xc0c00000
	v_fmaak_f32 v43, v0, v6, 0x40400000
	v_fmamk_f32 v0, v1, 0x3fa00000, v2
	v_mul_f32_e32 v0, v1, v0
	v_fma_f32 v44, v1, v0, 1.0
	v_sub_f32_e32 v0, 1.0, v1
	v_fmac_f32_e32 v2, 0x3fa00000, v0
	v_mul_f32_e32 v1, v0, v2
	v_fma_f32 v45, v0, v1, 1.0
	v_add_f32_e32 v0, 1.0, v0
	v_fmac_f32_e32 v3, 0xbf400000, v0
	v_fmac_f32_e32 v7, v0, v3
	v_fmac_f32_e32 v38, v0, v7
	v_ashrrev_i32_e32 v0, 31, v37
	s_waitcnt lgkmcnt(0)
	v_mul_lo_u32 v2, s17, v37
	v_mul_lo_u32 v3, s16, v0
	v_mad_u64_u32 v[0:1], s[16:17], s16, v37, 0
	v_add3_u32 v1, v1, v3, v2
	v_ashrrev_i32_e32 v2, 31, v36
	v_mul_lo_u32 v6, s19, v36
	v_mul_lo_u32 v7, s18, v2
	v_mad_u64_u32 v[2:3], s[16:17], s18, v36, 0
	s_cmp_gt_i32 s6, 0
	v_lshl_add_u64 v[0:1], v[0:1], 2, s[30:31]
	v_add3_u32 v3, v3, v7, v6
	s_cselect_b64 s[2:3], -1, 0
	v_lshl_add_u64 v[0:1], v[2:3], 2, v[0:1]
	v_add_u32_e32 v2, -1, v5
	s_add_i32 s7, s8, -1
	v_add_u32_e32 v3, -1, v4
	s_add_i32 s8, s10, -1
	v_min_i32_e32 v2, s7, v2
	v_max_i32_e32 v6, 0, v2
	v_min_i32_e32 v2, s8, v3
	v_max_i32_e32 v7, 0, v2
	v_min_i32_e32 v2, s8, v4
	v_max_i32_e32 v10, 0, v2
	v_add_u32_e32 v2, 1, v4
	v_min_i32_e32 v2, s8, v2
	v_max_i32_e32 v11, 0, v2
	v_add_u32_e32 v2, 2, v4
	v_min_i32_e32 v2, s8, v2
	v_max_i32_e32 v13, 0, v2
	v_min_i32_e32 v2, s7, v5
	v_max_i32_e32 v14, 0, v2
	v_add_u32_e32 v2, 1, v5
	v_min_i32_e32 v2, s7, v2
	v_max_i32_e32 v21, 0, v2
	v_add_u32_e32 v2, 2, v5
	v_min_i32_e32 v2, s7, v2
	v_max_i32_e32 v47, 0, v2
	v_mad_u64_u32 v[2:3], s[8:9], s24, v6, 0
	v_mov_b32_e32 v4, v3
	v_mad_u64_u32 v[4:5], s[8:9], s25, v6, v[4:5]
	v_mov_b32_e32 v3, v4
	v_lshlrev_b64 v[8:9], 2, v[2:3]
	v_mad_u64_u32 v[2:3], s[8:9], s26, v7, 0
	v_mov_b32_e32 v4, v3
	v_mad_u64_u32 v[4:5], s[8:9], s27, v7, v[4:5]
	v_mov_b32_e32 v3, v4
	;; [unrolled: 2-line block ×8, first 2 shown]
	v_lshlrev_b64 v[32:33], 2, v[10:11]
	v_mad_u64_u32 v[10:11], s[16:17], s24, v14, 0
	v_mad_u64_u32 v[18:19], s[16:17], s24, v21, 0
	;; [unrolled: 1-line block ×3, first 2 shown]
	v_mov_b32_e32 v12, v11
	v_mov_b32_e32 v20, v19
	;; [unrolled: 1-line block ×3, first 2 shown]
	v_mad_u64_u32 v[12:13], s[16:17], s25, v14, v[12:13]
	v_mad_u64_u32 v[20:21], s[16:17], s25, v21, v[20:21]
	;; [unrolled: 1-line block ×3, first 2 shown]
	v_mov_b32_e32 v11, v12
	v_mov_b32_e32 v19, v20
	;; [unrolled: 1-line block ×3, first 2 shown]
	v_lshlrev_b64 v[26:27], 2, v[2:3]
	v_lshlrev_b64 v[28:29], 2, v[4:5]
	v_lshlrev_b64 v[30:31], 2, v[6:7]
	v_lshlrev_b64 v[16:17], 2, v[10:11]
	v_lshlrev_b64 v[24:25], 2, v[18:19]
	v_lshlrev_b64 v[34:35], 2, v[34:35]
	s_mov_b32 s5, 0
	v_lshl_add_u64 v[2:3], v[8:9], 0, v[26:27]
	s_lshl_b64 s[8:9], s[20:21], 2
	s_lshl_b64 s[10:11], s[22:23], 2
	v_lshl_add_u64 v[4:5], v[28:29], 0, v[8:9]
	v_lshl_add_u64 v[6:7], v[8:9], 0, v[30:31]
	;; [unrolled: 1-line block ×15, first 2 shown]
	s_lshl_b64 s[12:13], s[12:13], 2
	s_lshl_b64 s[14:15], s[14:15], 2
	s_branch .LBB9_5
.LBB9_4:                                ;   in Loop: Header=BB9_5 Depth=1
	s_add_i32 s5, s5, 1
	s_add_u32 s28, s28, s8
	s_addc_u32 s29, s29, s9
	s_cmp_eq_u32 s5, s4
	v_lshl_add_u64 v[0:1], v[0:1], 0, s[12:13]
	s_cbranch_scc1 .LBB9_7
.LBB9_5:                                ; =>This Loop Header: Depth=1
                                        ;     Child Loop BB9_6 Depth 2
	s_andn2_b64 vcc, exec, s[2:3]
	v_mov_b64_e32 v[34:35], v[0:1]
	s_mov_b64 s[16:17], s[28:29]
	s_mov_b32 s7, s6
	s_cbranch_vccnz .LBB9_4
.LBB9_6:                                ;   Parent Loop BB9_5 Depth=1
                                        ; =>  This Inner Loop Header: Depth=2
	global_load_dword v54, v[34:35], off
	v_lshl_add_u64 v[46:47], s[16:17], 0, v[2:3]
	v_lshl_add_u64 v[48:49], s[16:17], 0, v[4:5]
	;; [unrolled: 1-line block ×4, first 2 shown]
	s_add_i32 s7, s7, -1
	v_lshl_add_u64 v[34:35], v[34:35], 0, s[14:15]
	s_waitcnt vmcnt(0)
	v_mul_f32_e32 v55, v54, v43
	v_mul_f32_e32 v56, v55, v39
	global_atomic_add_f32 v[46:47], v56, off
	v_mul_f32_e32 v56, v55, v40
	global_atomic_add_f32 v[48:49], v56, off
	;; [unrolled: 2-line block ×4, first 2 shown]
	v_mul_f32_e32 v55, v54, v44
	v_lshl_add_u64 v[46:47], s[16:17], 0, v[10:11]
	v_mul_f32_e32 v56, v55, v39
	v_lshl_add_u64 v[48:49], s[16:17], 0, v[12:13]
	global_atomic_add_f32 v[46:47], v56, off
	v_mul_f32_e32 v56, v55, v40
	v_lshl_add_u64 v[50:51], s[16:17], 0, v[14:15]
	global_atomic_add_f32 v[48:49], v56, off
	;; [unrolled: 3-line block ×3, first 2 shown]
	v_mul_f32_e32 v55, v55, v42
	global_atomic_add_f32 v[52:53], v55, off
	v_mul_f32_e32 v55, v54, v45
	v_lshl_add_u64 v[46:47], s[16:17], 0, v[18:19]
	v_mul_f32_e32 v56, v55, v39
	v_lshl_add_u64 v[48:49], s[16:17], 0, v[20:21]
	global_atomic_add_f32 v[46:47], v56, off
	v_mul_f32_e32 v56, v55, v40
	v_lshl_add_u64 v[50:51], s[16:17], 0, v[22:23]
	global_atomic_add_f32 v[48:49], v56, off
	;; [unrolled: 3-line block ×3, first 2 shown]
	v_mul_f32_e32 v55, v55, v42
	v_mul_f32_e32 v54, v54, v38
	v_lshl_add_u64 v[46:47], s[16:17], 0, v[26:27]
	global_atomic_add_f32 v[52:53], v55, off
	v_mul_f32_e32 v55, v54, v39
	v_lshl_add_u64 v[48:49], s[16:17], 0, v[28:29]
	v_mul_f32_e32 v56, v54, v40
	global_atomic_add_f32 v[46:47], v55, off
	v_lshl_add_u64 v[50:51], s[16:17], 0, v[30:31]
	v_lshl_add_u64 v[52:53], s[16:17], 0, v[32:33]
	v_mul_f32_e32 v46, v54, v41
	v_mul_f32_e32 v47, v54, v42
	global_atomic_add_f32 v[48:49], v56, off
	global_atomic_add_f32 v[50:51], v46, off
	;; [unrolled: 1-line block ×3, first 2 shown]
	s_add_u32 s16, s16, s10
	s_addc_u32 s17, s17, s11
	s_cmp_eq_u32 s7, 0
	s_cbranch_scc0 .LBB9_6
	s_branch .LBB9_4
.LBB9_7:
	s_mov_b64 s[2:3], 0
.LBB9_8:
	s_andn2_b64 vcc, exec, s[2:3]
	s_cbranch_vccnz .LBB9_14
; %bb.9:
	s_cmp_lt_i32 s4, 1
	s_cbranch_scc1 .LBB9_14
; %bb.10:
	s_load_dwordx8 s[12:19], s[0:1], 0x80
	s_load_dwordx2 s[2:3], s[0:1], 0x10
	s_load_dwordx8 s[20:27], s[0:1], 0x38
	s_load_dwordx2 s[8:9], s[0:1], 0x58
	v_ashrrev_i32_e32 v4, 31, v37
	s_waitcnt lgkmcnt(0)
	v_mul_lo_u32 v2, s17, v37
	v_mul_lo_u32 v3, s16, v4
	v_mad_u64_u32 v[0:1], s[0:1], s16, v37, 0
	v_ashrrev_i32_e32 v5, 31, v36
	v_add3_u32 v1, v1, v3, v2
	v_mul_lo_u32 v6, s19, v36
	v_mul_lo_u32 v7, s18, v5
	v_mad_u64_u32 v[2:3], s[0:1], s18, v36, 0
	v_lshl_add_u64 v[0:1], v[0:1], 2, s[8:9]
	v_add3_u32 v3, v3, v7, v6
	v_lshl_add_u64 v[0:1], v[2:3], 2, v[0:1]
	v_mul_lo_u32 v6, s25, v37
	v_mul_lo_u32 v4, s24, v4
	v_mad_u64_u32 v[2:3], s[0:1], s24, v37, 0
	s_cmp_gt_i32 s6, 0
	v_add3_u32 v3, v3, v4, v6
	v_mul_lo_u32 v6, s27, v36
	v_mul_lo_u32 v7, s26, v5
	v_mad_u64_u32 v[4:5], s[0:1], s26, v36, 0
	s_cselect_b64 s[28:29], -1, 0
	v_lshl_add_u64 v[2:3], v[2:3], 2, s[2:3]
	v_add3_u32 v5, v5, v7, v6
	v_lshl_add_u64 v[2:3], v[4:5], 2, v[2:3]
	v_cndmask_b32_e64 v4, 0, 1, s[28:29]
	s_mov_b32 s5, 0
	s_lshl_b64 s[2:3], s[20:21], 2
	s_lshl_b64 s[8:9], s[22:23], 2
	;; [unrolled: 1-line block ×4, first 2 shown]
	v_cmp_ne_u32_e64 s[0:1], 1, v4
	s_branch .LBB9_12
.LBB9_11:                               ;   in Loop: Header=BB9_12 Depth=1
	s_add_i32 s5, s5, 1
	v_lshl_add_u64 v[2:3], v[2:3], 0, s[2:3]
	s_cmp_eq_u32 s5, s4
	v_lshl_add_u64 v[0:1], v[0:1], 0, s[10:11]
	s_cbranch_scc1 .LBB9_14
.LBB9_12:                               ; =>This Loop Header: Depth=1
                                        ;     Child Loop BB9_13 Depth 2
	s_and_b64 vcc, exec, s[0:1]
	v_mov_b64_e32 v[4:5], v[0:1]
	v_mov_b64_e32 v[6:7], v[2:3]
	s_mov_b32 s7, s6
	s_cbranch_vccnz .LBB9_11
.LBB9_13:                               ;   Parent Loop BB9_12 Depth=1
                                        ; =>  This Inner Loop Header: Depth=2
	global_load_dword v8, v[4:5], off
	s_add_i32 s7, s7, -1
	v_lshl_add_u64 v[4:5], v[4:5], 0, s[12:13]
	s_cmp_eq_u32 s7, 0
	s_waitcnt vmcnt(0)
	global_store_dword v[6:7], v8, off
	v_lshl_add_u64 v[6:7], v[6:7], 0, s[8:9]
	s_cbranch_scc0 .LBB9_13
	s_branch .LBB9_11
.LBB9_14:
	s_endpgm
	.section	.rodata,"a",@progbits
	.p2align	6, 0x0
	.amdhsa_kernel _ZN2at6native12_GLOBAL__N_137upsample_bicubic2d_backward_out_frameIffEEviT0_S3_bN5torch10headeronly6detail27GenericPackedTensorAccessorINS6_14TensorAccessorIN3c108ArrayRefIlEET_Lm3ENS5_16DefaultPtrTraitsElEENS_6detail16IndexBoundsCheckILm4ElEESC_Lm4ESD_lEENS7_INS8_ISB_KSC_Lm3ESD_lEESH_SJ_Lm4ESD_lEE
		.amdhsa_group_segment_fixed_size 0
		.amdhsa_private_segment_fixed_size 0
		.amdhsa_kernarg_size 416
		.amdhsa_user_sgpr_count 2
		.amdhsa_user_sgpr_dispatch_ptr 0
		.amdhsa_user_sgpr_queue_ptr 0
		.amdhsa_user_sgpr_kernarg_segment_ptr 1
		.amdhsa_user_sgpr_dispatch_id 0
		.amdhsa_user_sgpr_kernarg_preload_length 0
		.amdhsa_user_sgpr_kernarg_preload_offset 0
		.amdhsa_user_sgpr_private_segment_size 0
		.amdhsa_uses_dynamic_stack 0
		.amdhsa_enable_private_segment 0
		.amdhsa_system_sgpr_workgroup_id_x 1
		.amdhsa_system_sgpr_workgroup_id_y 0
		.amdhsa_system_sgpr_workgroup_id_z 0
		.amdhsa_system_sgpr_workgroup_info 0
		.amdhsa_system_vgpr_workitem_id 0
		.amdhsa_next_free_vgpr 57
		.amdhsa_next_free_sgpr 32
		.amdhsa_accum_offset 60
		.amdhsa_reserve_vcc 1
		.amdhsa_float_round_mode_32 0
		.amdhsa_float_round_mode_16_64 0
		.amdhsa_float_denorm_mode_32 3
		.amdhsa_float_denorm_mode_16_64 3
		.amdhsa_dx10_clamp 1
		.amdhsa_ieee_mode 1
		.amdhsa_fp16_overflow 0
		.amdhsa_tg_split 0
		.amdhsa_exception_fp_ieee_invalid_op 0
		.amdhsa_exception_fp_denorm_src 0
		.amdhsa_exception_fp_ieee_div_zero 0
		.amdhsa_exception_fp_ieee_overflow 0
		.amdhsa_exception_fp_ieee_underflow 0
		.amdhsa_exception_fp_ieee_inexact 0
		.amdhsa_exception_int_div_zero 0
	.end_amdhsa_kernel
	.section	.text._ZN2at6native12_GLOBAL__N_137upsample_bicubic2d_backward_out_frameIffEEviT0_S3_bN5torch10headeronly6detail27GenericPackedTensorAccessorINS6_14TensorAccessorIN3c108ArrayRefIlEET_Lm3ENS5_16DefaultPtrTraitsElEENS_6detail16IndexBoundsCheckILm4ElEESC_Lm4ESD_lEENS7_INS8_ISB_KSC_Lm3ESD_lEESH_SJ_Lm4ESD_lEE,"axG",@progbits,_ZN2at6native12_GLOBAL__N_137upsample_bicubic2d_backward_out_frameIffEEviT0_S3_bN5torch10headeronly6detail27GenericPackedTensorAccessorINS6_14TensorAccessorIN3c108ArrayRefIlEET_Lm3ENS5_16DefaultPtrTraitsElEENS_6detail16IndexBoundsCheckILm4ElEESC_Lm4ESD_lEENS7_INS8_ISB_KSC_Lm3ESD_lEESH_SJ_Lm4ESD_lEE,comdat
.Lfunc_end9:
	.size	_ZN2at6native12_GLOBAL__N_137upsample_bicubic2d_backward_out_frameIffEEviT0_S3_bN5torch10headeronly6detail27GenericPackedTensorAccessorINS6_14TensorAccessorIN3c108ArrayRefIlEET_Lm3ENS5_16DefaultPtrTraitsElEENS_6detail16IndexBoundsCheckILm4ElEESC_Lm4ESD_lEENS7_INS8_ISB_KSC_Lm3ESD_lEESH_SJ_Lm4ESD_lEE, .Lfunc_end9-_ZN2at6native12_GLOBAL__N_137upsample_bicubic2d_backward_out_frameIffEEviT0_S3_bN5torch10headeronly6detail27GenericPackedTensorAccessorINS6_14TensorAccessorIN3c108ArrayRefIlEET_Lm3ENS5_16DefaultPtrTraitsElEENS_6detail16IndexBoundsCheckILm4ElEESC_Lm4ESD_lEENS7_INS8_ISB_KSC_Lm3ESD_lEESH_SJ_Lm4ESD_lEE
                                        ; -- End function
	.set _ZN2at6native12_GLOBAL__N_137upsample_bicubic2d_backward_out_frameIffEEviT0_S3_bN5torch10headeronly6detail27GenericPackedTensorAccessorINS6_14TensorAccessorIN3c108ArrayRefIlEET_Lm3ENS5_16DefaultPtrTraitsElEENS_6detail16IndexBoundsCheckILm4ElEESC_Lm4ESD_lEENS7_INS8_ISB_KSC_Lm3ESD_lEESH_SJ_Lm4ESD_lEE.num_vgpr, 57
	.set _ZN2at6native12_GLOBAL__N_137upsample_bicubic2d_backward_out_frameIffEEviT0_S3_bN5torch10headeronly6detail27GenericPackedTensorAccessorINS6_14TensorAccessorIN3c108ArrayRefIlEET_Lm3ENS5_16DefaultPtrTraitsElEENS_6detail16IndexBoundsCheckILm4ElEESC_Lm4ESD_lEENS7_INS8_ISB_KSC_Lm3ESD_lEESH_SJ_Lm4ESD_lEE.num_agpr, 0
	.set _ZN2at6native12_GLOBAL__N_137upsample_bicubic2d_backward_out_frameIffEEviT0_S3_bN5torch10headeronly6detail27GenericPackedTensorAccessorINS6_14TensorAccessorIN3c108ArrayRefIlEET_Lm3ENS5_16DefaultPtrTraitsElEENS_6detail16IndexBoundsCheckILm4ElEESC_Lm4ESD_lEENS7_INS8_ISB_KSC_Lm3ESD_lEESH_SJ_Lm4ESD_lEE.numbered_sgpr, 32
	.set _ZN2at6native12_GLOBAL__N_137upsample_bicubic2d_backward_out_frameIffEEviT0_S3_bN5torch10headeronly6detail27GenericPackedTensorAccessorINS6_14TensorAccessorIN3c108ArrayRefIlEET_Lm3ENS5_16DefaultPtrTraitsElEENS_6detail16IndexBoundsCheckILm4ElEESC_Lm4ESD_lEENS7_INS8_ISB_KSC_Lm3ESD_lEESH_SJ_Lm4ESD_lEE.num_named_barrier, 0
	.set _ZN2at6native12_GLOBAL__N_137upsample_bicubic2d_backward_out_frameIffEEviT0_S3_bN5torch10headeronly6detail27GenericPackedTensorAccessorINS6_14TensorAccessorIN3c108ArrayRefIlEET_Lm3ENS5_16DefaultPtrTraitsElEENS_6detail16IndexBoundsCheckILm4ElEESC_Lm4ESD_lEENS7_INS8_ISB_KSC_Lm3ESD_lEESH_SJ_Lm4ESD_lEE.private_seg_size, 0
	.set _ZN2at6native12_GLOBAL__N_137upsample_bicubic2d_backward_out_frameIffEEviT0_S3_bN5torch10headeronly6detail27GenericPackedTensorAccessorINS6_14TensorAccessorIN3c108ArrayRefIlEET_Lm3ENS5_16DefaultPtrTraitsElEENS_6detail16IndexBoundsCheckILm4ElEESC_Lm4ESD_lEENS7_INS8_ISB_KSC_Lm3ESD_lEESH_SJ_Lm4ESD_lEE.uses_vcc, 1
	.set _ZN2at6native12_GLOBAL__N_137upsample_bicubic2d_backward_out_frameIffEEviT0_S3_bN5torch10headeronly6detail27GenericPackedTensorAccessorINS6_14TensorAccessorIN3c108ArrayRefIlEET_Lm3ENS5_16DefaultPtrTraitsElEENS_6detail16IndexBoundsCheckILm4ElEESC_Lm4ESD_lEENS7_INS8_ISB_KSC_Lm3ESD_lEESH_SJ_Lm4ESD_lEE.uses_flat_scratch, 0
	.set _ZN2at6native12_GLOBAL__N_137upsample_bicubic2d_backward_out_frameIffEEviT0_S3_bN5torch10headeronly6detail27GenericPackedTensorAccessorINS6_14TensorAccessorIN3c108ArrayRefIlEET_Lm3ENS5_16DefaultPtrTraitsElEENS_6detail16IndexBoundsCheckILm4ElEESC_Lm4ESD_lEENS7_INS8_ISB_KSC_Lm3ESD_lEESH_SJ_Lm4ESD_lEE.has_dyn_sized_stack, 0
	.set _ZN2at6native12_GLOBAL__N_137upsample_bicubic2d_backward_out_frameIffEEviT0_S3_bN5torch10headeronly6detail27GenericPackedTensorAccessorINS6_14TensorAccessorIN3c108ArrayRefIlEET_Lm3ENS5_16DefaultPtrTraitsElEENS_6detail16IndexBoundsCheckILm4ElEESC_Lm4ESD_lEENS7_INS8_ISB_KSC_Lm3ESD_lEESH_SJ_Lm4ESD_lEE.has_recursion, 0
	.set _ZN2at6native12_GLOBAL__N_137upsample_bicubic2d_backward_out_frameIffEEviT0_S3_bN5torch10headeronly6detail27GenericPackedTensorAccessorINS6_14TensorAccessorIN3c108ArrayRefIlEET_Lm3ENS5_16DefaultPtrTraitsElEENS_6detail16IndexBoundsCheckILm4ElEESC_Lm4ESD_lEENS7_INS8_ISB_KSC_Lm3ESD_lEESH_SJ_Lm4ESD_lEE.has_indirect_call, 0
	.section	.AMDGPU.csdata,"",@progbits
; Kernel info:
; codeLenInByte = 2004
; TotalNumSgprs: 38
; NumVgprs: 57
; NumAgprs: 0
; TotalNumVgprs: 57
; ScratchSize: 0
; MemoryBound: 0
; FloatMode: 240
; IeeeMode: 1
; LDSByteSize: 0 bytes/workgroup (compile time only)
; SGPRBlocks: 4
; VGPRBlocks: 7
; NumSGPRsForWavesPerEU: 38
; NumVGPRsForWavesPerEU: 57
; AccumOffset: 60
; Occupancy: 8
; WaveLimiterHint : 1
; COMPUTE_PGM_RSRC2:SCRATCH_EN: 0
; COMPUTE_PGM_RSRC2:USER_SGPR: 2
; COMPUTE_PGM_RSRC2:TRAP_HANDLER: 0
; COMPUTE_PGM_RSRC2:TGID_X_EN: 1
; COMPUTE_PGM_RSRC2:TGID_Y_EN: 0
; COMPUTE_PGM_RSRC2:TGID_Z_EN: 0
; COMPUTE_PGM_RSRC2:TIDIG_COMP_CNT: 0
; COMPUTE_PGM_RSRC3_GFX90A:ACCUM_OFFSET: 14
; COMPUTE_PGM_RSRC3_GFX90A:TG_SPLIT: 0
	.section	.text._ZN2at6native12_GLOBAL__N_137upsample_bicubic2d_backward_out_frameIN3c104HalfEfEEviT0_S5_bN5torch10headeronly6detail27GenericPackedTensorAccessorINS8_14TensorAccessorINS3_8ArrayRefIlEET_Lm3ENS7_16DefaultPtrTraitsElEENS_6detail16IndexBoundsCheckILm4ElEESD_Lm4ESE_lEENS9_INSA_ISC_KSD_Lm3ESE_lEESI_SK_Lm4ESE_lEE,"axG",@progbits,_ZN2at6native12_GLOBAL__N_137upsample_bicubic2d_backward_out_frameIN3c104HalfEfEEviT0_S5_bN5torch10headeronly6detail27GenericPackedTensorAccessorINS8_14TensorAccessorINS3_8ArrayRefIlEET_Lm3ENS7_16DefaultPtrTraitsElEENS_6detail16IndexBoundsCheckILm4ElEESD_Lm4ESE_lEENS9_INSA_ISC_KSD_Lm3ESE_lEESI_SK_Lm4ESE_lEE,comdat
	.globl	_ZN2at6native12_GLOBAL__N_137upsample_bicubic2d_backward_out_frameIN3c104HalfEfEEviT0_S5_bN5torch10headeronly6detail27GenericPackedTensorAccessorINS8_14TensorAccessorINS3_8ArrayRefIlEET_Lm3ENS7_16DefaultPtrTraitsElEENS_6detail16IndexBoundsCheckILm4ElEESD_Lm4ESE_lEENS9_INSA_ISC_KSD_Lm3ESE_lEESI_SK_Lm4ESE_lEE ; -- Begin function _ZN2at6native12_GLOBAL__N_137upsample_bicubic2d_backward_out_frameIN3c104HalfEfEEviT0_S5_bN5torch10headeronly6detail27GenericPackedTensorAccessorINS8_14TensorAccessorINS3_8ArrayRefIlEET_Lm3ENS7_16DefaultPtrTraitsElEENS_6detail16IndexBoundsCheckILm4ElEESD_Lm4ESE_lEENS9_INSA_ISC_KSD_Lm3ESE_lEESI_SK_Lm4ESE_lEE
	.p2align	8
	.type	_ZN2at6native12_GLOBAL__N_137upsample_bicubic2d_backward_out_frameIN3c104HalfEfEEviT0_S5_bN5torch10headeronly6detail27GenericPackedTensorAccessorINS8_14TensorAccessorINS3_8ArrayRefIlEET_Lm3ENS7_16DefaultPtrTraitsElEENS_6detail16IndexBoundsCheckILm4ElEESD_Lm4ESE_lEENS9_INSA_ISC_KSD_Lm3ESE_lEESI_SK_Lm4ESE_lEE,@function
_ZN2at6native12_GLOBAL__N_137upsample_bicubic2d_backward_out_frameIN3c104HalfEfEEviT0_S5_bN5torch10headeronly6detail27GenericPackedTensorAccessorINS8_14TensorAccessorINS3_8ArrayRefIlEET_Lm3ENS7_16DefaultPtrTraitsElEENS_6detail16IndexBoundsCheckILm4ElEESD_Lm4ESE_lEENS9_INSA_ISC_KSD_Lm3ESE_lEESI_SK_Lm4ESE_lEE: ; @_ZN2at6native12_GLOBAL__N_137upsample_bicubic2d_backward_out_frameIN3c104HalfEfEEviT0_S5_bN5torch10headeronly6detail27GenericPackedTensorAccessorINS8_14TensorAccessorINS3_8ArrayRefIlEET_Lm3ENS7_16DefaultPtrTraitsElEENS_6detail16IndexBoundsCheckILm4ElEESD_Lm4ESE_lEENS9_INSA_ISC_KSD_Lm3ESE_lEESI_SK_Lm4ESE_lEE
; %bb.0:
	s_load_dword s3, s[0:1], 0xac
	s_load_dwordx4 s[4:7], s[0:1], 0x0
	s_waitcnt lgkmcnt(0)
	s_and_b32 s3, s3, 0xffff
	s_mul_i32 s2, s2, s3
	v_add_u32_e32 v0, s2, v0
	v_cmp_gt_i32_e32 vcc, s4, v0
	s_and_saveexec_b64 s[2:3], vcc
	s_cbranch_execz .LBB10_41
; %bb.1:
	s_load_dwordx4 s[16:19], s[0:1], 0x70
	s_load_dwordx8 s[8:15], s[0:1], 0x18
	v_sub_u32_e32 v2, 0, v0
	v_max_i32_e32 v2, v0, v2
	s_waitcnt lgkmcnt(0)
	s_abs_i32 s4, s18
	v_cvt_f32_u32_e32 v1, s4
	s_sub_i32 s9, 0, s4
	v_xor_b32_e32 v3, s18, v0
	v_ashrrev_i32_e32 v3, 31, v3
	v_rcp_iflag_f32_e32 v1, v1
	s_cmp_lg_u32 s12, s16
	s_cselect_b64 s[2:3], -1, 0
	s_cmp_lg_u32 s14, s18
	v_mul_f32_e32 v1, 0x4f7ffffe, v1
	v_cvt_u32_f32_e32 v1, v1
	s_cselect_b64 s[16:17], -1, 0
	s_or_b64 s[16:17], s[16:17], s[2:3]
	s_mov_b64 s[2:3], -1
	v_mul_lo_u32 v4, s9, v1
	v_mul_hi_u32 v4, v1, v4
	v_add_u32_e32 v1, v1, v4
	v_mul_hi_u32 v1, v2, v1
	v_mul_lo_u32 v4, v1, s4
	v_sub_u32_e32 v2, v2, v4
	v_add_u32_e32 v5, 1, v1
	v_cmp_le_u32_e32 vcc, s4, v2
	v_subrev_u32_e32 v4, s4, v2
	s_nop 0
	v_cndmask_b32_e32 v1, v1, v5, vcc
	v_cndmask_b32_e32 v2, v2, v4, vcc
	v_add_u32_e32 v4, 1, v1
	v_cmp_le_u32_e32 vcc, s4, v2
	s_nop 1
	v_cndmask_b32_e32 v1, v1, v4, vcc
	v_xor_b32_e32 v1, v1, v3
	v_sub_u32_e32 v25, v1, v3
	v_mul_lo_u32 v1, v25, s18
	v_sub_u32_e32 v24, v0, v1
	s_and_b64 vcc, exec, s[16:17]
	s_cbranch_vccz .LBB10_35
; %bb.2:
	s_cmp_lt_i32 s8, 1
	s_cbranch_scc1 .LBB10_34
; %bb.3:
	v_cvt_f32_i32_e32 v0, v24
	s_bitcmp1_b32 s7, 0
	v_cvt_f32_i32_e32 v1, v25
	s_cselect_b64 vcc, -1, 0
	v_mul_f32_e32 v2, s6, v0
	v_add_f32_e32 v0, 0.5, v0
	v_fma_f32 v0, s6, v0, -0.5
	v_cndmask_b32_e32 v0, v0, v2, vcc
	v_floor_f32_e32 v2, v0
	v_cvt_i32_f32_e32 v14, v2
	v_mul_f32_e32 v2, s5, v1
	v_add_f32_e32 v1, 0.5, v1
	v_fma_f32 v1, s5, v1, -0.5
	v_cndmask_b32_e32 v1, v1, v2, vcc
	v_floor_f32_e32 v2, v1
	v_cvt_i32_f32_e32 v8, v2
	v_cvt_f32_i32_e32 v2, v14
	v_mov_b32_e32 v9, 0x40700000
	v_mov_b32_e32 v6, 0xc0100000
	v_cvt_f32_i32_e32 v3, v8
	v_sub_f32_e32 v0, v0, v2
	v_add_f32_e32 v2, 1.0, v0
	v_fmamk_f32 v4, v2, 0xbf400000, v9
	v_fmaak_f32 v4, v2, v4, 0xc0c00000
	v_fmaak_f32 v27, v2, v4, 0x40400000
	v_fmamk_f32 v2, v0, 0x3fa00000, v6
	v_mul_f32_e32 v2, v0, v2
	v_fma_f32 v28, v0, v2, 1.0
	v_sub_f32_e32 v0, 1.0, v0
	v_fmamk_f32 v2, v0, 0x3fa00000, v6
	v_mul_f32_e32 v2, v0, v2
	v_fma_f32 v29, v0, v2, 1.0
	v_add_f32_e32 v0, 1.0, v0
	v_sub_f32_e32 v1, v1, v3
	v_fmamk_f32 v2, v0, 0xbf400000, v9
	v_mov_b32_e32 v26, 0x40400000
	v_fmaak_f32 v2, v0, v2, 0xc0c00000
	v_add_f32_e32 v4, 1.0, v1
	s_mov_b32 s2, 0x40400000
	v_fmac_f32_e32 v26, v0, v2
	v_fmamk_f32 v0, v4, 0xbf400000, v9
	v_fmamk_f32 v2, v1, 0x3fa00000, v6
	s_mov_b32 s3, 1.0
	v_fmaak_f32 v0, v4, v0, 0xc0c00000
	v_mul_f32_e32 v5, v1, v2
	v_sub_f32_e32 v2, 1.0, v1
	v_add_f32_e32 v7, 1.0, v2
	v_pk_fma_f32 v[0:1], v[4:5], v[0:1], s[2:3]
	s_mov_b32 s4, s3
	s_mov_b32 s5, s2
	s_load_dwordx8 s[16:23], s[0:1], 0x80
	s_load_dwordx2 s[34:35], s[0:1], 0x10
	s_load_dwordx8 s[24:31], s[0:1], 0x38
	s_load_dwordx2 s[2:3], s[0:1], 0x58
	v_mov_b32_e32 v3, 0xc0c00000
	v_fmac_f32_e32 v6, 0x3fa00000, v2
	v_fmac_f32_e32 v9, 0xbf400000, v7
	v_mul_f32_e32 v6, v2, v6
	v_fmac_f32_e32 v3, v7, v9
	v_ashrrev_i32_e32 v4, 31, v25
	v_pk_fma_f32 v[2:3], v[2:3], v[6:7], s[4:5]
	s_waitcnt lgkmcnt(0)
	v_mul_lo_u32 v6, s21, v25
	v_mul_lo_u32 v7, s20, v4
	v_mad_u64_u32 v[4:5], s[4:5], s20, v25, 0
	v_add3_u32 v5, v5, v7, v6
	v_ashrrev_i32_e32 v6, 31, v24
	v_lshl_add_u64 v[4:5], v[4:5], 1, s[2:3]
	v_mul_lo_u32 v9, s23, v24
	v_mul_lo_u32 v10, s22, v6
	v_mad_u64_u32 v[6:7], s[2:3], s22, v24, 0
	s_cmp_gt_i32 s10, 0
	v_add3_u32 v7, v7, v10, v9
	s_cselect_b64 s[6:7], -1, 0
	v_lshl_add_u64 v[4:5], v[6:7], 1, v[4:5]
	v_add_u32_e32 v6, -1, v14
	s_add_i32 s4, s14, -1
	v_min_i32_e32 v6, s4, v6
	v_max_i32_e32 v9, 0, v6
	v_mad_u64_u32 v[6:7], s[2:3], s30, v9, 0
	v_add_u32_e32 v30, -1, v8
	v_mov_b32_e32 v8, v7
	v_mad_u64_u32 v[8:9], s[2:3], s31, v9, v[8:9]
	v_mov_b32_e32 v7, v8
	v_min_i32_e32 v8, s4, v14
	v_max_i32_e32 v11, 0, v8
	v_mad_u64_u32 v[8:9], s[2:3], s30, v11, 0
	v_mov_b32_e32 v10, v9
	v_mad_u64_u32 v[10:11], s[2:3], s31, v11, v[10:11]
	v_mov_b32_e32 v9, v10
	v_add_u32_e32 v10, 1, v14
	v_min_i32_e32 v10, s4, v10
	v_max_i32_e32 v13, 0, v10
	v_mad_u64_u32 v[10:11], s[2:3], s30, v13, 0
	v_mov_b32_e32 v12, v11
	v_mad_u64_u32 v[12:13], s[2:3], s31, v13, v[12:13]
	v_mov_b32_e32 v11, v12
	v_add_u32_e32 v12, 2, v14
	v_min_i32_e32 v12, s4, v12
	v_max_i32_e32 v15, 0, v12
	v_mad_u64_u32 v[12:13], s[2:3], s30, v15, 0
	v_mov_b32_e32 v14, v13
	v_mad_u64_u32 v[14:15], s[2:3], s31, v15, v[14:15]
	s_mov_b32 s9, 0
	s_add_i32 s11, s12, -1
	v_mov_b32_e32 v13, v14
	v_mov_b32_e32 v15, 0
	s_mov_b32 s20, 0xffff0000
	s_branch .LBB10_5
.LBB10_4:                               ;   in Loop: Header=BB10_5 Depth=1
	s_add_i32 s9, s9, 1
	s_cmp_eq_u32 s9, s8
	s_cbranch_scc1 .LBB10_34
.LBB10_5:                               ; =>This Loop Header: Depth=1
                                        ;     Child Loop BB10_8 Depth 2
                                        ;       Child Loop BB10_10 Depth 3
                                        ;         Child Loop BB10_12 Depth 4
                                        ;         Child Loop BB10_18 Depth 4
	;; [unrolled: 1-line block ×4, first 2 shown]
	s_andn2_b64 vcc, exec, s[6:7]
	s_cbranch_vccnz .LBB10_4
; %bb.6:                                ;   in Loop: Header=BB10_5 Depth=1
	s_mul_i32 s2, s17, s9
	s_mul_hi_u32 s3, s16, s9
	s_add_i32 s3, s3, s2
	s_mul_i32 s2, s16, s9
	v_lshl_add_u64 v[16:17], s[2:3], 1, v[4:5]
	s_mul_i32 s2, s25, s9
	s_mul_hi_u32 s3, s24, s9
	s_add_i32 s3, s3, s2
	s_mul_i32 s2, s24, s9
	s_lshl_b64 s[2:3], s[2:3], 1
	s_add_u32 s21, s34, s2
	s_addc_u32 s22, s35, s3
	s_mov_b32 s23, 0
	s_branch .LBB10_8
.LBB10_7:                               ;   in Loop: Header=BB10_8 Depth=2
	s_add_i32 s23, s23, 1
	s_cmp_eq_u32 s23, s10
	s_cbranch_scc1 .LBB10_4
.LBB10_8:                               ;   Parent Loop BB10_5 Depth=1
                                        ; =>  This Loop Header: Depth=2
                                        ;       Child Loop BB10_10 Depth 3
                                        ;         Child Loop BB10_12 Depth 4
                                        ;         Child Loop BB10_18 Depth 4
	;; [unrolled: 1-line block ×4, first 2 shown]
	s_mul_i32 s2, s19, s23
	s_mul_hi_u32 s3, s18, s23
	s_add_i32 s3, s3, s2
	s_mul_i32 s2, s18, s23
	v_lshl_add_u64 v[18:19], s[2:3], 1, v[16:17]
	global_load_ushort v14, v[18:19], off
	s_mul_i32 s3, s27, s23
	s_mul_hi_u32 s4, s26, s23
	s_mul_i32 s2, s26, s23
	s_add_i32 s3, s4, s3
	s_lshl_b64 s[2:3], s[2:3], 1
	s_add_u32 s12, s21, s2
	s_addc_u32 s13, s22, s3
	s_mov_b32 s30, 0
	s_waitcnt vmcnt(0)
	v_cvt_f32_f16_e32 v31, v14
	s_branch .LBB10_10
.LBB10_9:                               ;   in Loop: Header=BB10_10 Depth=3
	s_or_b64 exec, exec, s[14:15]
	s_add_i32 s30, s30, 1
	s_cmp_eq_u32 s30, 4
	s_cbranch_scc1 .LBB10_7
.LBB10_10:                              ;   Parent Loop BB10_5 Depth=1
                                        ;     Parent Loop BB10_8 Depth=2
                                        ; =>    This Loop Header: Depth=3
                                        ;         Child Loop BB10_12 Depth 4
                                        ;         Child Loop BB10_18 Depth 4
	;; [unrolled: 1-line block ×4, first 2 shown]
	v_add_u32_e32 v14, s30, v30
	v_min_i32_e32 v14, s11, v14
	v_max_i32_e32 v20, 0, v14
	v_mad_u64_u32 v[18:19], s[2:3], s28, v20, 0
	v_mov_b32_e32 v14, v19
	v_mad_u64_u32 v[20:21], s[2:3], s29, v20, v[14:15]
	v_mov_b32_e32 v19, v20
	v_lshl_add_u64 v[18:19], v[18:19], 1, s[12:13]
	v_lshl_add_u64 v[20:21], v[6:7], 1, v[18:19]
	v_and_b32_e32 v14, 2, v20
	v_sub_co_u32_e32 v22, vcc, 0, v14
	s_cmp_eq_u32 s30, 1
	s_nop 0
	v_subb_co_u32_e64 v23, s[2:3], 0, 0, vcc
	v_lshl_add_u64 v[20:21], v[20:21], 0, v[22:23]
	global_load_dword v23, v[20:21], off
	s_cselect_b64 vcc, -1, 0
	s_cmp_eq_u32 s30, 2
	v_cndmask_b32_e32 v22, v0, v1, vcc
	s_cselect_b64 vcc, -1, 0
	s_cmp_eq_u32 s30, 3
	v_cndmask_b32_e32 v22, v22, v2, vcc
	s_cselect_b64 vcc, -1, 0
	v_cndmask_b32_e32 v22, v22, v3, vcc
	v_mul_f32_e32 v32, v22, v31
	v_fma_mixlo_f16 v33, v32, v27, 0
	s_mov_b64 s[14:15], 0
	v_cmp_eq_u64_e32 vcc, 0, v[14:15]
	v_cmp_ne_u32_e64 s[2:3], 0, v14
	s_branch .LBB10_12
.LBB10_11:                              ;   in Loop: Header=BB10_12 Depth=4
	s_or_b64 exec, exec, s[4:5]
	global_atomic_cmpswap v14, v[20:21], v[22:23], off sc0
	s_waitcnt vmcnt(0)
	v_cmp_eq_u32_e64 s[4:5], v23, v14
	s_or_b64 s[14:15], s[4:5], s[14:15]
	v_mov_b32_e32 v23, v14
	s_andn2_b64 exec, exec, s[14:15]
	s_cbranch_execz .LBB10_16
.LBB10_12:                              ;   Parent Loop BB10_5 Depth=1
                                        ;     Parent Loop BB10_8 Depth=2
                                        ;       Parent Loop BB10_10 Depth=3
                                        ; =>      This Inner Loop Header: Depth=4
	s_waitcnt vmcnt(0)
	v_cndmask_b32_sdwa v14, v23, v23, vcc dst_sel:DWORD dst_unused:UNUSED_PAD src0_sel:WORD_1 src1_sel:DWORD
	v_add_f16_e32 v14, v33, v14
	s_and_saveexec_b64 s[4:5], s[2:3]
	s_xor_b64 s[4:5], exec, s[4:5]
; %bb.13:                               ;   in Loop: Header=BB10_12 Depth=4
	v_and_b32_e32 v22, 0xffff, v23
	v_lshl_or_b32 v22, v14, 16, v22
                                        ; implicit-def: $vgpr14
; %bb.14:                               ;   in Loop: Header=BB10_12 Depth=4
	s_andn2_saveexec_b64 s[4:5], s[4:5]
	s_cbranch_execz .LBB10_11
; %bb.15:                               ;   in Loop: Header=BB10_12 Depth=4
	v_and_or_b32 v22, v23, s20, v14
	s_branch .LBB10_11
.LBB10_16:                              ;   in Loop: Header=BB10_10 Depth=3
	s_or_b64 exec, exec, s[14:15]
	v_lshl_add_u64 v[20:21], v[8:9], 1, v[18:19]
	v_and_b32_e32 v14, 2, v20
	v_sub_co_u32_e32 v22, vcc, 0, v14
	v_fma_mixlo_f16 v33, v32, v28, 0
	s_nop 0
	v_subb_co_u32_e64 v23, s[2:3], 0, 0, vcc
	v_lshl_add_u64 v[20:21], v[20:21], 0, v[22:23]
	global_load_dword v23, v[20:21], off
	s_mov_b64 s[14:15], 0
	v_cmp_eq_u64_e32 vcc, 0, v[14:15]
	v_cmp_ne_u32_e64 s[2:3], 0, v14
	s_branch .LBB10_18
.LBB10_17:                              ;   in Loop: Header=BB10_18 Depth=4
	s_or_b64 exec, exec, s[4:5]
	global_atomic_cmpswap v14, v[20:21], v[22:23], off sc0
	s_waitcnt vmcnt(0)
	v_cmp_eq_u32_e64 s[4:5], v23, v14
	s_or_b64 s[14:15], s[4:5], s[14:15]
	v_mov_b32_e32 v23, v14
	s_andn2_b64 exec, exec, s[14:15]
	s_cbranch_execz .LBB10_22
.LBB10_18:                              ;   Parent Loop BB10_5 Depth=1
                                        ;     Parent Loop BB10_8 Depth=2
                                        ;       Parent Loop BB10_10 Depth=3
                                        ; =>      This Inner Loop Header: Depth=4
	s_waitcnt vmcnt(0)
	v_cndmask_b32_sdwa v14, v23, v23, vcc dst_sel:DWORD dst_unused:UNUSED_PAD src0_sel:WORD_1 src1_sel:DWORD
	v_add_f16_e32 v14, v33, v14
	s_and_saveexec_b64 s[4:5], s[2:3]
	s_xor_b64 s[4:5], exec, s[4:5]
; %bb.19:                               ;   in Loop: Header=BB10_18 Depth=4
	v_and_b32_e32 v22, 0xffff, v23
	v_lshl_or_b32 v22, v14, 16, v22
                                        ; implicit-def: $vgpr14
; %bb.20:                               ;   in Loop: Header=BB10_18 Depth=4
	s_andn2_saveexec_b64 s[4:5], s[4:5]
	s_cbranch_execz .LBB10_17
; %bb.21:                               ;   in Loop: Header=BB10_18 Depth=4
	v_and_or_b32 v22, v23, s20, v14
	s_branch .LBB10_17
.LBB10_22:                              ;   in Loop: Header=BB10_10 Depth=3
	s_or_b64 exec, exec, s[14:15]
	v_lshl_add_u64 v[20:21], v[10:11], 1, v[18:19]
	v_and_b32_e32 v14, 2, v20
	v_sub_co_u32_e32 v22, vcc, 0, v14
	v_fma_mixlo_f16 v33, v32, v29, 0
	s_nop 0
	v_subb_co_u32_e64 v23, s[2:3], 0, 0, vcc
	v_lshl_add_u64 v[20:21], v[20:21], 0, v[22:23]
	global_load_dword v23, v[20:21], off
	;; [unrolled: 42-line block ×3, first 2 shown]
	s_mov_b64 s[14:15], 0
	v_cmp_eq_u64_e32 vcc, 0, v[14:15]
	v_cmp_ne_u32_e64 s[2:3], 0, v14
	s_branch .LBB10_30
.LBB10_29:                              ;   in Loop: Header=BB10_30 Depth=4
	s_or_b64 exec, exec, s[4:5]
	global_atomic_cmpswap v14, v[18:19], v[20:21], off sc0
	s_waitcnt vmcnt(0)
	v_cmp_eq_u32_e64 s[4:5], v21, v14
	s_or_b64 s[14:15], s[4:5], s[14:15]
	v_mov_b32_e32 v21, v14
	s_andn2_b64 exec, exec, s[14:15]
	s_cbranch_execz .LBB10_9
.LBB10_30:                              ;   Parent Loop BB10_5 Depth=1
                                        ;     Parent Loop BB10_8 Depth=2
                                        ;       Parent Loop BB10_10 Depth=3
                                        ; =>      This Inner Loop Header: Depth=4
	s_waitcnt vmcnt(0)
	v_cndmask_b32_sdwa v14, v21, v21, vcc dst_sel:DWORD dst_unused:UNUSED_PAD src0_sel:WORD_1 src1_sel:DWORD
	v_add_f16_e32 v14, v22, v14
	s_and_saveexec_b64 s[4:5], s[2:3]
	s_xor_b64 s[4:5], exec, s[4:5]
; %bb.31:                               ;   in Loop: Header=BB10_30 Depth=4
	v_and_b32_e32 v20, 0xffff, v21
	v_lshl_or_b32 v20, v14, 16, v20
                                        ; implicit-def: $vgpr14
; %bb.32:                               ;   in Loop: Header=BB10_30 Depth=4
	s_andn2_saveexec_b64 s[4:5], s[4:5]
	s_cbranch_execz .LBB10_29
; %bb.33:                               ;   in Loop: Header=BB10_30 Depth=4
	v_and_or_b32 v20, v21, s20, v14
	s_branch .LBB10_29
.LBB10_34:
	s_mov_b64 s[2:3], 0
.LBB10_35:
	s_andn2_b64 vcc, exec, s[2:3]
	s_cbranch_vccnz .LBB10_41
; %bb.36:
	s_cmp_lt_i32 s8, 1
	s_cbranch_scc1 .LBB10_41
; %bb.37:
	s_load_dwordx8 s[12:19], s[0:1], 0x80
	s_load_dwordx2 s[2:3], s[0:1], 0x10
	s_load_dwordx8 s[20:27], s[0:1], 0x38
	s_load_dwordx2 s[4:5], s[0:1], 0x58
	v_ashrrev_i32_e32 v4, 31, v25
	s_waitcnt lgkmcnt(0)
	v_mul_lo_u32 v2, s17, v25
	v_mul_lo_u32 v3, s16, v4
	v_mad_u64_u32 v[0:1], s[0:1], s16, v25, 0
	v_ashrrev_i32_e32 v5, 31, v24
	v_add3_u32 v1, v1, v3, v2
	v_mul_lo_u32 v6, s19, v24
	v_mul_lo_u32 v7, s18, v5
	v_mad_u64_u32 v[2:3], s[0:1], s18, v24, 0
	v_lshl_add_u64 v[0:1], v[0:1], 1, s[4:5]
	v_add3_u32 v3, v3, v7, v6
	v_lshl_add_u64 v[0:1], v[2:3], 1, v[0:1]
	v_mul_lo_u32 v6, s25, v25
	v_mul_lo_u32 v4, s24, v4
	v_mad_u64_u32 v[2:3], s[0:1], s24, v25, 0
	s_cmp_gt_i32 s10, 0
	v_add3_u32 v3, v3, v4, v6
	v_mul_lo_u32 v6, s27, v24
	v_mul_lo_u32 v7, s26, v5
	v_mad_u64_u32 v[4:5], s[0:1], s26, v24, 0
	s_cselect_b64 s[28:29], -1, 0
	v_lshl_add_u64 v[2:3], v[2:3], 1, s[2:3]
	v_add3_u32 v5, v5, v7, v6
	v_lshl_add_u64 v[2:3], v[4:5], 1, v[2:3]
	v_cndmask_b32_e64 v4, 0, 1, s[28:29]
	s_mov_b32 s9, 0
	s_lshl_b64 s[2:3], s[20:21], 1
	s_lshl_b64 s[4:5], s[22:23], 1
	;; [unrolled: 1-line block ×4, first 2 shown]
	v_cmp_ne_u32_e64 s[0:1], 1, v4
	s_branch .LBB10_39
.LBB10_38:                              ;   in Loop: Header=BB10_39 Depth=1
	s_add_i32 s9, s9, 1
	v_lshl_add_u64 v[2:3], v[2:3], 0, s[2:3]
	s_cmp_eq_u32 s9, s8
	v_lshl_add_u64 v[0:1], v[0:1], 0, s[6:7]
	s_cbranch_scc1 .LBB10_41
.LBB10_39:                              ; =>This Loop Header: Depth=1
                                        ;     Child Loop BB10_40 Depth 2
	s_and_b64 vcc, exec, s[0:1]
	v_mov_b64_e32 v[4:5], v[0:1]
	v_mov_b64_e32 v[6:7], v[2:3]
	s_mov_b32 s11, s10
	s_cbranch_vccnz .LBB10_38
.LBB10_40:                              ;   Parent Loop BB10_39 Depth=1
                                        ; =>  This Inner Loop Header: Depth=2
	global_load_ushort v8, v[4:5], off
	s_add_i32 s11, s11, -1
	v_lshl_add_u64 v[4:5], v[4:5], 0, s[12:13]
	s_cmp_eq_u32 s11, 0
	s_waitcnt vmcnt(0)
	global_store_short v[6:7], v8, off
	v_lshl_add_u64 v[6:7], v[6:7], 0, s[4:5]
	s_cbranch_scc0 .LBB10_40
	s_branch .LBB10_38
.LBB10_41:
	s_endpgm
	.section	.rodata,"a",@progbits
	.p2align	6, 0x0
	.amdhsa_kernel _ZN2at6native12_GLOBAL__N_137upsample_bicubic2d_backward_out_frameIN3c104HalfEfEEviT0_S5_bN5torch10headeronly6detail27GenericPackedTensorAccessorINS8_14TensorAccessorINS3_8ArrayRefIlEET_Lm3ENS7_16DefaultPtrTraitsElEENS_6detail16IndexBoundsCheckILm4ElEESD_Lm4ESE_lEENS9_INSA_ISC_KSD_Lm3ESE_lEESI_SK_Lm4ESE_lEE
		.amdhsa_group_segment_fixed_size 0
		.amdhsa_private_segment_fixed_size 0
		.amdhsa_kernarg_size 416
		.amdhsa_user_sgpr_count 2
		.amdhsa_user_sgpr_dispatch_ptr 0
		.amdhsa_user_sgpr_queue_ptr 0
		.amdhsa_user_sgpr_kernarg_segment_ptr 1
		.amdhsa_user_sgpr_dispatch_id 0
		.amdhsa_user_sgpr_kernarg_preload_length 0
		.amdhsa_user_sgpr_kernarg_preload_offset 0
		.amdhsa_user_sgpr_private_segment_size 0
		.amdhsa_uses_dynamic_stack 0
		.amdhsa_enable_private_segment 0
		.amdhsa_system_sgpr_workgroup_id_x 1
		.amdhsa_system_sgpr_workgroup_id_y 0
		.amdhsa_system_sgpr_workgroup_id_z 0
		.amdhsa_system_sgpr_workgroup_info 0
		.amdhsa_system_vgpr_workitem_id 0
		.amdhsa_next_free_vgpr 34
		.amdhsa_next_free_sgpr 36
		.amdhsa_accum_offset 36
		.amdhsa_reserve_vcc 1
		.amdhsa_float_round_mode_32 0
		.amdhsa_float_round_mode_16_64 0
		.amdhsa_float_denorm_mode_32 3
		.amdhsa_float_denorm_mode_16_64 3
		.amdhsa_dx10_clamp 1
		.amdhsa_ieee_mode 1
		.amdhsa_fp16_overflow 0
		.amdhsa_tg_split 0
		.amdhsa_exception_fp_ieee_invalid_op 0
		.amdhsa_exception_fp_denorm_src 0
		.amdhsa_exception_fp_ieee_div_zero 0
		.amdhsa_exception_fp_ieee_overflow 0
		.amdhsa_exception_fp_ieee_underflow 0
		.amdhsa_exception_fp_ieee_inexact 0
		.amdhsa_exception_int_div_zero 0
	.end_amdhsa_kernel
	.section	.text._ZN2at6native12_GLOBAL__N_137upsample_bicubic2d_backward_out_frameIN3c104HalfEfEEviT0_S5_bN5torch10headeronly6detail27GenericPackedTensorAccessorINS8_14TensorAccessorINS3_8ArrayRefIlEET_Lm3ENS7_16DefaultPtrTraitsElEENS_6detail16IndexBoundsCheckILm4ElEESD_Lm4ESE_lEENS9_INSA_ISC_KSD_Lm3ESE_lEESI_SK_Lm4ESE_lEE,"axG",@progbits,_ZN2at6native12_GLOBAL__N_137upsample_bicubic2d_backward_out_frameIN3c104HalfEfEEviT0_S5_bN5torch10headeronly6detail27GenericPackedTensorAccessorINS8_14TensorAccessorINS3_8ArrayRefIlEET_Lm3ENS7_16DefaultPtrTraitsElEENS_6detail16IndexBoundsCheckILm4ElEESD_Lm4ESE_lEENS9_INSA_ISC_KSD_Lm3ESE_lEESI_SK_Lm4ESE_lEE,comdat
.Lfunc_end10:
	.size	_ZN2at6native12_GLOBAL__N_137upsample_bicubic2d_backward_out_frameIN3c104HalfEfEEviT0_S5_bN5torch10headeronly6detail27GenericPackedTensorAccessorINS8_14TensorAccessorINS3_8ArrayRefIlEET_Lm3ENS7_16DefaultPtrTraitsElEENS_6detail16IndexBoundsCheckILm4ElEESD_Lm4ESE_lEENS9_INSA_ISC_KSD_Lm3ESE_lEESI_SK_Lm4ESE_lEE, .Lfunc_end10-_ZN2at6native12_GLOBAL__N_137upsample_bicubic2d_backward_out_frameIN3c104HalfEfEEviT0_S5_bN5torch10headeronly6detail27GenericPackedTensorAccessorINS8_14TensorAccessorINS3_8ArrayRefIlEET_Lm3ENS7_16DefaultPtrTraitsElEENS_6detail16IndexBoundsCheckILm4ElEESD_Lm4ESE_lEENS9_INSA_ISC_KSD_Lm3ESE_lEESI_SK_Lm4ESE_lEE
                                        ; -- End function
	.set _ZN2at6native12_GLOBAL__N_137upsample_bicubic2d_backward_out_frameIN3c104HalfEfEEviT0_S5_bN5torch10headeronly6detail27GenericPackedTensorAccessorINS8_14TensorAccessorINS3_8ArrayRefIlEET_Lm3ENS7_16DefaultPtrTraitsElEENS_6detail16IndexBoundsCheckILm4ElEESD_Lm4ESE_lEENS9_INSA_ISC_KSD_Lm3ESE_lEESI_SK_Lm4ESE_lEE.num_vgpr, 34
	.set _ZN2at6native12_GLOBAL__N_137upsample_bicubic2d_backward_out_frameIN3c104HalfEfEEviT0_S5_bN5torch10headeronly6detail27GenericPackedTensorAccessorINS8_14TensorAccessorINS3_8ArrayRefIlEET_Lm3ENS7_16DefaultPtrTraitsElEENS_6detail16IndexBoundsCheckILm4ElEESD_Lm4ESE_lEENS9_INSA_ISC_KSD_Lm3ESE_lEESI_SK_Lm4ESE_lEE.num_agpr, 0
	.set _ZN2at6native12_GLOBAL__N_137upsample_bicubic2d_backward_out_frameIN3c104HalfEfEEviT0_S5_bN5torch10headeronly6detail27GenericPackedTensorAccessorINS8_14TensorAccessorINS3_8ArrayRefIlEET_Lm3ENS7_16DefaultPtrTraitsElEENS_6detail16IndexBoundsCheckILm4ElEESD_Lm4ESE_lEENS9_INSA_ISC_KSD_Lm3ESE_lEESI_SK_Lm4ESE_lEE.numbered_sgpr, 36
	.set _ZN2at6native12_GLOBAL__N_137upsample_bicubic2d_backward_out_frameIN3c104HalfEfEEviT0_S5_bN5torch10headeronly6detail27GenericPackedTensorAccessorINS8_14TensorAccessorINS3_8ArrayRefIlEET_Lm3ENS7_16DefaultPtrTraitsElEENS_6detail16IndexBoundsCheckILm4ElEESD_Lm4ESE_lEENS9_INSA_ISC_KSD_Lm3ESE_lEESI_SK_Lm4ESE_lEE.num_named_barrier, 0
	.set _ZN2at6native12_GLOBAL__N_137upsample_bicubic2d_backward_out_frameIN3c104HalfEfEEviT0_S5_bN5torch10headeronly6detail27GenericPackedTensorAccessorINS8_14TensorAccessorINS3_8ArrayRefIlEET_Lm3ENS7_16DefaultPtrTraitsElEENS_6detail16IndexBoundsCheckILm4ElEESD_Lm4ESE_lEENS9_INSA_ISC_KSD_Lm3ESE_lEESI_SK_Lm4ESE_lEE.private_seg_size, 0
	.set _ZN2at6native12_GLOBAL__N_137upsample_bicubic2d_backward_out_frameIN3c104HalfEfEEviT0_S5_bN5torch10headeronly6detail27GenericPackedTensorAccessorINS8_14TensorAccessorINS3_8ArrayRefIlEET_Lm3ENS7_16DefaultPtrTraitsElEENS_6detail16IndexBoundsCheckILm4ElEESD_Lm4ESE_lEENS9_INSA_ISC_KSD_Lm3ESE_lEESI_SK_Lm4ESE_lEE.uses_vcc, 1
	.set _ZN2at6native12_GLOBAL__N_137upsample_bicubic2d_backward_out_frameIN3c104HalfEfEEviT0_S5_bN5torch10headeronly6detail27GenericPackedTensorAccessorINS8_14TensorAccessorINS3_8ArrayRefIlEET_Lm3ENS7_16DefaultPtrTraitsElEENS_6detail16IndexBoundsCheckILm4ElEESD_Lm4ESE_lEENS9_INSA_ISC_KSD_Lm3ESE_lEESI_SK_Lm4ESE_lEE.uses_flat_scratch, 0
	.set _ZN2at6native12_GLOBAL__N_137upsample_bicubic2d_backward_out_frameIN3c104HalfEfEEviT0_S5_bN5torch10headeronly6detail27GenericPackedTensorAccessorINS8_14TensorAccessorINS3_8ArrayRefIlEET_Lm3ENS7_16DefaultPtrTraitsElEENS_6detail16IndexBoundsCheckILm4ElEESD_Lm4ESE_lEENS9_INSA_ISC_KSD_Lm3ESE_lEESI_SK_Lm4ESE_lEE.has_dyn_sized_stack, 0
	.set _ZN2at6native12_GLOBAL__N_137upsample_bicubic2d_backward_out_frameIN3c104HalfEfEEviT0_S5_bN5torch10headeronly6detail27GenericPackedTensorAccessorINS8_14TensorAccessorINS3_8ArrayRefIlEET_Lm3ENS7_16DefaultPtrTraitsElEENS_6detail16IndexBoundsCheckILm4ElEESD_Lm4ESE_lEENS9_INSA_ISC_KSD_Lm3ESE_lEESI_SK_Lm4ESE_lEE.has_recursion, 0
	.set _ZN2at6native12_GLOBAL__N_137upsample_bicubic2d_backward_out_frameIN3c104HalfEfEEviT0_S5_bN5torch10headeronly6detail27GenericPackedTensorAccessorINS8_14TensorAccessorINS3_8ArrayRefIlEET_Lm3ENS7_16DefaultPtrTraitsElEENS_6detail16IndexBoundsCheckILm4ElEESD_Lm4ESE_lEENS9_INSA_ISC_KSD_Lm3ESE_lEESI_SK_Lm4ESE_lEE.has_indirect_call, 0
	.section	.AMDGPU.csdata,"",@progbits
; Kernel info:
; codeLenInByte = 2216
; TotalNumSgprs: 42
; NumVgprs: 34
; NumAgprs: 0
; TotalNumVgprs: 34
; ScratchSize: 0
; MemoryBound: 0
; FloatMode: 240
; IeeeMode: 1
; LDSByteSize: 0 bytes/workgroup (compile time only)
; SGPRBlocks: 5
; VGPRBlocks: 4
; NumSGPRsForWavesPerEU: 42
; NumVGPRsForWavesPerEU: 34
; AccumOffset: 36
; Occupancy: 8
; WaveLimiterHint : 1
; COMPUTE_PGM_RSRC2:SCRATCH_EN: 0
; COMPUTE_PGM_RSRC2:USER_SGPR: 2
; COMPUTE_PGM_RSRC2:TRAP_HANDLER: 0
; COMPUTE_PGM_RSRC2:TGID_X_EN: 1
; COMPUTE_PGM_RSRC2:TGID_Y_EN: 0
; COMPUTE_PGM_RSRC2:TGID_Z_EN: 0
; COMPUTE_PGM_RSRC2:TIDIG_COMP_CNT: 0
; COMPUTE_PGM_RSRC3_GFX90A:ACCUM_OFFSET: 8
; COMPUTE_PGM_RSRC3_GFX90A:TG_SPLIT: 0
	.section	.text._ZN2at6native12_GLOBAL__N_137upsample_bicubic2d_backward_out_frameIN3c108BFloat16EfEEviT0_S5_bN5torch10headeronly6detail27GenericPackedTensorAccessorINS8_14TensorAccessorINS3_8ArrayRefIlEET_Lm3ENS7_16DefaultPtrTraitsElEENS_6detail16IndexBoundsCheckILm4ElEESD_Lm4ESE_lEENS9_INSA_ISC_KSD_Lm3ESE_lEESI_SK_Lm4ESE_lEE,"axG",@progbits,_ZN2at6native12_GLOBAL__N_137upsample_bicubic2d_backward_out_frameIN3c108BFloat16EfEEviT0_S5_bN5torch10headeronly6detail27GenericPackedTensorAccessorINS8_14TensorAccessorINS3_8ArrayRefIlEET_Lm3ENS7_16DefaultPtrTraitsElEENS_6detail16IndexBoundsCheckILm4ElEESD_Lm4ESE_lEENS9_INSA_ISC_KSD_Lm3ESE_lEESI_SK_Lm4ESE_lEE,comdat
	.globl	_ZN2at6native12_GLOBAL__N_137upsample_bicubic2d_backward_out_frameIN3c108BFloat16EfEEviT0_S5_bN5torch10headeronly6detail27GenericPackedTensorAccessorINS8_14TensorAccessorINS3_8ArrayRefIlEET_Lm3ENS7_16DefaultPtrTraitsElEENS_6detail16IndexBoundsCheckILm4ElEESD_Lm4ESE_lEENS9_INSA_ISC_KSD_Lm3ESE_lEESI_SK_Lm4ESE_lEE ; -- Begin function _ZN2at6native12_GLOBAL__N_137upsample_bicubic2d_backward_out_frameIN3c108BFloat16EfEEviT0_S5_bN5torch10headeronly6detail27GenericPackedTensorAccessorINS8_14TensorAccessorINS3_8ArrayRefIlEET_Lm3ENS7_16DefaultPtrTraitsElEENS_6detail16IndexBoundsCheckILm4ElEESD_Lm4ESE_lEENS9_INSA_ISC_KSD_Lm3ESE_lEESI_SK_Lm4ESE_lEE
	.p2align	8
	.type	_ZN2at6native12_GLOBAL__N_137upsample_bicubic2d_backward_out_frameIN3c108BFloat16EfEEviT0_S5_bN5torch10headeronly6detail27GenericPackedTensorAccessorINS8_14TensorAccessorINS3_8ArrayRefIlEET_Lm3ENS7_16DefaultPtrTraitsElEENS_6detail16IndexBoundsCheckILm4ElEESD_Lm4ESE_lEENS9_INSA_ISC_KSD_Lm3ESE_lEESI_SK_Lm4ESE_lEE,@function
_ZN2at6native12_GLOBAL__N_137upsample_bicubic2d_backward_out_frameIN3c108BFloat16EfEEviT0_S5_bN5torch10headeronly6detail27GenericPackedTensorAccessorINS8_14TensorAccessorINS3_8ArrayRefIlEET_Lm3ENS7_16DefaultPtrTraitsElEENS_6detail16IndexBoundsCheckILm4ElEESD_Lm4ESE_lEENS9_INSA_ISC_KSD_Lm3ESE_lEESI_SK_Lm4ESE_lEE: ; @_ZN2at6native12_GLOBAL__N_137upsample_bicubic2d_backward_out_frameIN3c108BFloat16EfEEviT0_S5_bN5torch10headeronly6detail27GenericPackedTensorAccessorINS8_14TensorAccessorINS3_8ArrayRefIlEET_Lm3ENS7_16DefaultPtrTraitsElEENS_6detail16IndexBoundsCheckILm4ElEESD_Lm4ESE_lEENS9_INSA_ISC_KSD_Lm3ESE_lEESI_SK_Lm4ESE_lEE
; %bb.0:
	s_load_dword s3, s[0:1], 0xac
	s_load_dwordx4 s[12:15], s[0:1], 0x0
	s_waitcnt lgkmcnt(0)
	s_and_b32 s3, s3, 0xffff
	s_mul_i32 s2, s2, s3
	v_add_u32_e32 v0, s2, v0
	v_cmp_gt_i32_e32 vcc, s12, v0
	s_and_saveexec_b64 s[2:3], vcc
	s_cbranch_execz .LBB11_25
; %bb.1:
	s_load_dwordx4 s[16:19], s[0:1], 0x70
	s_load_dwordx8 s[4:11], s[0:1], 0x18
	v_sub_u32_e32 v2, 0, v0
	v_max_i32_e32 v2, v0, v2
	s_waitcnt lgkmcnt(0)
	s_abs_i32 s12, s18
	v_cvt_f32_u32_e32 v1, s12
	s_sub_i32 s5, 0, s12
	v_xor_b32_e32 v3, s18, v0
	v_ashrrev_i32_e32 v3, 31, v3
	v_rcp_iflag_f32_e32 v1, v1
	s_cmp_lg_u32 s8, s16
	s_cselect_b64 s[2:3], -1, 0
	s_cmp_lg_u32 s10, s18
	v_mul_f32_e32 v1, 0x4f7ffffe, v1
	v_cvt_u32_f32_e32 v1, v1
	s_cselect_b64 s[16:17], -1, 0
	s_or_b64 s[16:17], s[16:17], s[2:3]
	s_mov_b64 s[2:3], -1
	v_mul_lo_u32 v4, s5, v1
	v_mul_hi_u32 v4, v1, v4
	v_add_u32_e32 v1, v1, v4
	v_mul_hi_u32 v1, v2, v1
	v_mul_lo_u32 v4, v1, s12
	v_sub_u32_e32 v2, v2, v4
	v_add_u32_e32 v5, 1, v1
	v_cmp_le_u32_e32 vcc, s12, v2
	v_subrev_u32_e32 v4, s12, v2
	s_nop 0
	v_cndmask_b32_e32 v1, v1, v5, vcc
	v_cndmask_b32_e32 v2, v2, v4, vcc
	v_add_u32_e32 v4, 1, v1
	v_cmp_le_u32_e32 vcc, s12, v2
	s_nop 1
	v_cndmask_b32_e32 v1, v1, v4, vcc
	v_xor_b32_e32 v1, v1, v3
	v_sub_u32_e32 v25, v1, v3
	v_mul_lo_u32 v1, v25, s18
	v_sub_u32_e32 v24, v0, v1
	s_and_b64 vcc, exec, s[16:17]
	s_cbranch_vccz .LBB11_19
; %bb.2:
	s_cmp_lt_i32 s4, 1
	s_cbranch_scc1 .LBB11_18
; %bb.3:
	v_cvt_f32_i32_e32 v0, v24
	s_bitcmp1_b32 s15, 0
	v_cvt_f32_i32_e32 v1, v25
	s_cselect_b64 vcc, -1, 0
	v_mul_f32_e32 v2, s14, v0
	v_add_f32_e32 v0, 0.5, v0
	v_fma_f32 v0, s14, v0, -0.5
	v_cndmask_b32_e32 v0, v0, v2, vcc
	v_floor_f32_e32 v2, v0
	v_cvt_i32_f32_e32 v14, v2
	v_mul_f32_e32 v2, s13, v1
	v_add_f32_e32 v1, 0.5, v1
	v_fma_f32 v1, s13, v1, -0.5
	v_cndmask_b32_e32 v1, v1, v2, vcc
	v_floor_f32_e32 v2, v1
	v_cvt_i32_f32_e32 v8, v2
	v_cvt_f32_i32_e32 v2, v14
	v_mov_b32_e32 v9, 0x40700000
	v_mov_b32_e32 v6, 0xc0100000
	v_cvt_f32_i32_e32 v3, v8
	v_sub_f32_e32 v0, v0, v2
	v_add_f32_e32 v2, 1.0, v0
	v_fmamk_f32 v4, v2, 0xbf400000, v9
	v_fmaak_f32 v4, v2, v4, 0xc0c00000
	v_fmaak_f32 v27, v2, v4, 0x40400000
	v_fmamk_f32 v2, v0, 0x3fa00000, v6
	v_mul_f32_e32 v2, v0, v2
	v_fma_f32 v28, v0, v2, 1.0
	v_sub_f32_e32 v0, 1.0, v0
	v_fmamk_f32 v2, v0, 0x3fa00000, v6
	v_mul_f32_e32 v2, v0, v2
	v_fma_f32 v29, v0, v2, 1.0
	v_add_f32_e32 v0, 1.0, v0
	v_fmamk_f32 v2, v0, 0xbf400000, v9
	v_sub_f32_e32 v1, v1, v3
	v_mov_b32_e32 v26, 0x40400000
	v_fmaak_f32 v2, v0, v2, 0xc0c00000
	v_fmac_f32_e32 v26, v0, v2
	v_fmamk_f32 v2, v1, 0x3fa00000, v6
	v_mul_f32_e32 v5, v1, v2
	v_sub_f32_e32 v2, 1.0, v1
	s_mov_b32 s2, 0x40400000
	v_add_f32_e32 v4, 1.0, v1
	v_add_f32_e32 v7, 1.0, v2
	s_mov_b32 s3, 1.0
	v_mov_b32_e32 v3, 0xc0c00000
	v_fmamk_f32 v0, v4, 0xbf400000, v9
	v_fmac_f32_e32 v6, 0x3fa00000, v2
	v_fmac_f32_e32 v9, 0xbf400000, v7
	v_fmaak_f32 v0, v4, v0, 0xc0c00000
	v_mul_f32_e32 v6, v2, v6
	v_fmac_f32_e32 v3, v7, v9
	s_mov_b32 s12, s3
	s_mov_b32 s13, s2
	v_pk_fma_f32 v[0:1], v[4:5], v[0:1], s[2:3]
	v_pk_fma_f32 v[2:3], v[2:3], v[6:7], s[12:13]
	s_load_dwordx8 s[12:19], s[0:1], 0x80
	s_load_dwordx2 s[30:31], s[0:1], 0x10
	s_load_dwordx8 s[20:27], s[0:1], 0x38
	s_load_dwordx2 s[2:3], s[0:1], 0x58
	v_ashrrev_i32_e32 v4, 31, v25
	s_waitcnt lgkmcnt(0)
	v_mul_lo_u32 v6, s17, v25
	v_mul_lo_u32 v7, s16, v4
	v_mad_u64_u32 v[4:5], s[16:17], s16, v25, 0
	v_add3_u32 v5, v5, v7, v6
	v_ashrrev_i32_e32 v6, 31, v24
	v_lshl_add_u64 v[4:5], v[4:5], 1, s[2:3]
	v_mul_lo_u32 v9, s19, v24
	v_mul_lo_u32 v10, s18, v6
	v_mad_u64_u32 v[6:7], s[2:3], s18, v24, 0
	s_cmp_gt_i32 s6, 0
	v_add3_u32 v7, v7, v10, v9
	s_cselect_b64 s[28:29], -1, 0
	v_lshl_add_u64 v[4:5], v[6:7], 1, v[4:5]
	v_add_u32_e32 v6, -1, v14
	s_add_i32 s7, s8, -1
	s_add_i32 s8, s10, -1
	v_min_i32_e32 v6, s8, v6
	v_max_i32_e32 v9, 0, v6
	v_mad_u64_u32 v[6:7], s[2:3], s26, v9, 0
	v_add_u32_e32 v30, -1, v8
	v_mov_b32_e32 v8, v7
	v_mad_u64_u32 v[8:9], s[2:3], s27, v9, v[8:9]
	v_mov_b32_e32 v7, v8
	v_min_i32_e32 v8, s8, v14
	v_max_i32_e32 v11, 0, v8
	v_mad_u64_u32 v[8:9], s[2:3], s26, v11, 0
	v_mov_b32_e32 v10, v9
	v_mad_u64_u32 v[10:11], s[2:3], s27, v11, v[10:11]
	v_mov_b32_e32 v9, v10
	v_add_u32_e32 v10, 1, v14
	v_min_i32_e32 v10, s8, v10
	v_max_i32_e32 v13, 0, v10
	v_mad_u64_u32 v[10:11], s[2:3], s26, v13, 0
	v_mov_b32_e32 v12, v11
	v_mad_u64_u32 v[12:13], s[2:3], s27, v13, v[12:13]
	v_mov_b32_e32 v11, v12
	v_add_u32_e32 v12, 2, v14
	v_min_i32_e32 v12, s8, v12
	v_max_i32_e32 v15, 0, v12
	v_mad_u64_u32 v[12:13], s[2:3], s26, v15, 0
	v_mov_b32_e32 v14, v13
	v_mad_u64_u32 v[14:15], s[2:3], s27, v15, v[14:15]
	s_mov_b32 s5, 0
	v_mov_b32_e32 v13, v14
	s_movk_i32 s16, 0x7fff
	s_mov_b32 s17, 0xffff0000
	v_mov_b32_e32 v15, 0
	v_mov_b32_e32 v31, 0x7fc00000
	;; [unrolled: 1-line block ×3, first 2 shown]
	s_branch .LBB11_5
.LBB11_4:                               ;   in Loop: Header=BB11_5 Depth=1
	s_add_i32 s5, s5, 1
	s_cmp_eq_u32 s5, s4
	s_cbranch_scc1 .LBB11_18
.LBB11_5:                               ; =>This Loop Header: Depth=1
                                        ;     Child Loop BB11_7 Depth 2
                                        ;       Child Loop BB11_8 Depth 3
                                        ;         Child Loop BB11_9 Depth 4
                                        ;         Child Loop BB11_11 Depth 4
	;; [unrolled: 1-line block ×4, first 2 shown]
	s_andn2_b64 vcc, exec, s[28:29]
	s_cbranch_vccnz .LBB11_4
; %bb.6:                                ;   in Loop: Header=BB11_5 Depth=1
	s_mul_i32 s2, s13, s5
	s_mul_hi_u32 s3, s12, s5
	s_add_i32 s3, s3, s2
	s_mul_i32 s2, s12, s5
	v_lshl_add_u64 v[16:17], s[2:3], 1, v[4:5]
	s_mul_i32 s2, s21, s5
	s_mul_hi_u32 s3, s20, s5
	s_add_i32 s3, s3, s2
	s_mul_i32 s2, s20, s5
	s_lshl_b64 s[2:3], s[2:3], 1
	s_add_u32 s18, s30, s2
	s_addc_u32 s19, s31, s3
	s_mov_b32 s26, 0
.LBB11_7:                               ;   Parent Loop BB11_5 Depth=1
                                        ; =>  This Loop Header: Depth=2
                                        ;       Child Loop BB11_8 Depth 3
                                        ;         Child Loop BB11_9 Depth 4
                                        ;         Child Loop BB11_11 Depth 4
	;; [unrolled: 1-line block ×4, first 2 shown]
	s_mul_i32 s2, s15, s26
	s_mul_hi_u32 s3, s14, s26
	s_add_i32 s3, s3, s2
	s_mul_i32 s2, s14, s26
	v_lshl_add_u64 v[18:19], s[2:3], 1, v[16:17]
	global_load_ushort v14, v[18:19], off
	s_mul_i32 s3, s23, s26
	s_mul_hi_u32 s8, s22, s26
	s_mul_i32 s2, s22, s26
	s_add_i32 s3, s8, s3
	s_lshl_b64 s[2:3], s[2:3], 1
	s_add_u32 s8, s18, s2
	s_addc_u32 s9, s19, s3
	s_mov_b32 s27, 0
	s_waitcnt vmcnt(0)
	v_lshlrev_b32_e32 v33, 16, v14
.LBB11_8:                               ;   Parent Loop BB11_5 Depth=1
                                        ;     Parent Loop BB11_7 Depth=2
                                        ; =>    This Loop Header: Depth=3
                                        ;         Child Loop BB11_9 Depth 4
                                        ;         Child Loop BB11_11 Depth 4
                                        ;         Child Loop BB11_13 Depth 4
                                        ;         Child Loop BB11_15 Depth 4
	v_add_u32_e32 v14, s27, v30
	v_min_i32_e32 v14, s7, v14
	v_max_i32_e32 v20, 0, v14
	v_mad_u64_u32 v[18:19], s[2:3], s24, v20, 0
	v_mov_b32_e32 v14, v19
	v_mad_u64_u32 v[20:21], s[2:3], s25, v20, v[14:15]
	v_mov_b32_e32 v19, v20
	v_lshl_add_u64 v[18:19], v[18:19], 1, s[8:9]
	v_lshl_add_u64 v[20:21], v[6:7], 1, v[18:19]
	v_and_b32_e32 v14, 2, v20
	v_sub_co_u32_e32 v22, vcc, 0, v14
	s_cmp_eq_u32 s27, 1
	s_nop 0
	v_subb_co_u32_e64 v23, s[2:3], 0, 0, vcc
	v_lshl_add_u64 v[20:21], v[20:21], 0, v[22:23]
	global_load_dword v23, v[20:21], off
	s_cselect_b64 vcc, -1, 0
	s_cmp_eq_u32 s27, 2
	v_cndmask_b32_e32 v22, v0, v1, vcc
	s_cselect_b64 vcc, -1, 0
	s_cmp_eq_u32 s27, 3
	v_cndmask_b32_e32 v22, v22, v2, vcc
	s_cselect_b64 vcc, -1, 0
	v_cndmask_b32_e32 v22, v22, v3, vcc
	v_mul_f32_e32 v34, v22, v33
	v_mul_f32_e32 v22, v34, v27
	v_bfe_u32 v35, v22, 16, 1
	v_add3_u32 v35, v22, v35, s16
	v_and_b32_e32 v35, 0xffff0000, v35
	v_cmp_o_f32_e32 vcc, v22, v22
	s_mov_b64 s[10:11], 0
	v_cmp_eq_u64_e64 s[2:3], 0, v[14:15]
	v_cndmask_b32_e32 v14, v31, v35, vcc
.LBB11_9:                               ;   Parent Loop BB11_5 Depth=1
                                        ;     Parent Loop BB11_7 Depth=2
                                        ;       Parent Loop BB11_8 Depth=3
                                        ; =>      This Inner Loop Header: Depth=4
	s_mov_b64 vcc, s[2:3]
	s_waitcnt vmcnt(0)
	v_and_b32_e32 v22, 0xffff, v23
	v_cndmask_b32_sdwa v35, v23, v22, vcc dst_sel:WORD_1 dst_unused:UNUSED_PAD src0_sel:WORD_1 src1_sel:DWORD
	s_nop 0
	v_add_f32_e32 v35, v14, v35
	v_bfe_u32 v36, v35, 16, 1
	v_cmp_o_f32_e32 vcc, v35, v35
	v_add3_u32 v35, v35, v36, s16
	s_nop 0
	v_cndmask_b32_sdwa v35, v32, v35, vcc dst_sel:DWORD dst_unused:UNUSED_PAD src0_sel:DWORD src1_sel:WORD_1
	v_lshl_or_b32 v22, v35, 16, v22
	v_and_or_b32 v35, v23, s17, v35
	v_cndmask_b32_e64 v22, v22, v35, s[2:3]
	global_atomic_cmpswap v22, v[20:21], v[22:23], off sc0
	s_waitcnt vmcnt(0)
	v_cmp_eq_u32_e32 vcc, v23, v22
	s_or_b64 s[10:11], vcc, s[10:11]
	v_mov_b32_e32 v23, v22
	s_andn2_b64 exec, exec, s[10:11]
	s_cbranch_execnz .LBB11_9
; %bb.10:                               ;   in Loop: Header=BB11_8 Depth=3
	s_or_b64 exec, exec, s[10:11]
	v_lshl_add_u64 v[20:21], v[8:9], 1, v[18:19]
	v_and_b32_e32 v14, 2, v20
	v_sub_co_u32_e32 v22, vcc, 0, v14
	s_mov_b64 s[10:11], 0
	s_nop 0
	v_subb_co_u32_e64 v23, s[2:3], 0, 0, vcc
	v_lshl_add_u64 v[20:21], v[20:21], 0, v[22:23]
	global_load_dword v23, v[20:21], off
	v_mul_f32_e32 v22, v34, v28
	v_bfe_u32 v35, v22, 16, 1
	v_add3_u32 v35, v22, v35, s16
	v_and_b32_e32 v35, 0xffff0000, v35
	v_cmp_o_f32_e32 vcc, v22, v22
	v_cmp_eq_u64_e64 s[2:3], 0, v[14:15]
	s_nop 0
	v_cndmask_b32_e32 v14, v31, v35, vcc
.LBB11_11:                              ;   Parent Loop BB11_5 Depth=1
                                        ;     Parent Loop BB11_7 Depth=2
                                        ;       Parent Loop BB11_8 Depth=3
                                        ; =>      This Inner Loop Header: Depth=4
	s_mov_b64 vcc, s[2:3]
	s_waitcnt vmcnt(0)
	v_and_b32_e32 v22, 0xffff, v23
	v_cndmask_b32_sdwa v35, v23, v22, vcc dst_sel:WORD_1 dst_unused:UNUSED_PAD src0_sel:WORD_1 src1_sel:DWORD
	s_nop 0
	v_add_f32_e32 v35, v14, v35
	v_bfe_u32 v36, v35, 16, 1
	v_cmp_o_f32_e32 vcc, v35, v35
	v_add3_u32 v35, v35, v36, s16
	s_nop 0
	v_cndmask_b32_sdwa v35, v32, v35, vcc dst_sel:DWORD dst_unused:UNUSED_PAD src0_sel:DWORD src1_sel:WORD_1
	v_lshl_or_b32 v22, v35, 16, v22
	v_and_or_b32 v35, v23, s17, v35
	v_cndmask_b32_e64 v22, v22, v35, s[2:3]
	global_atomic_cmpswap v22, v[20:21], v[22:23], off sc0
	s_waitcnt vmcnt(0)
	v_cmp_eq_u32_e32 vcc, v23, v22
	s_or_b64 s[10:11], vcc, s[10:11]
	v_mov_b32_e32 v23, v22
	s_andn2_b64 exec, exec, s[10:11]
	s_cbranch_execnz .LBB11_11
; %bb.12:                               ;   in Loop: Header=BB11_8 Depth=3
	s_or_b64 exec, exec, s[10:11]
	v_lshl_add_u64 v[20:21], v[10:11], 1, v[18:19]
	v_and_b32_e32 v14, 2, v20
	v_sub_co_u32_e32 v22, vcc, 0, v14
	s_mov_b64 s[10:11], 0
	s_nop 0
	v_subb_co_u32_e64 v23, s[2:3], 0, 0, vcc
	v_lshl_add_u64 v[20:21], v[20:21], 0, v[22:23]
	global_load_dword v23, v[20:21], off
	v_mul_f32_e32 v22, v34, v29
	v_bfe_u32 v35, v22, 16, 1
	v_add3_u32 v35, v22, v35, s16
	v_and_b32_e32 v35, 0xffff0000, v35
	v_cmp_o_f32_e32 vcc, v22, v22
	v_cmp_eq_u64_e64 s[2:3], 0, v[14:15]
	s_nop 0
	v_cndmask_b32_e32 v14, v31, v35, vcc
.LBB11_13:                              ;   Parent Loop BB11_5 Depth=1
                                        ;     Parent Loop BB11_7 Depth=2
                                        ;       Parent Loop BB11_8 Depth=3
                                        ; =>      This Inner Loop Header: Depth=4
	s_mov_b64 vcc, s[2:3]
	s_waitcnt vmcnt(0)
	v_and_b32_e32 v22, 0xffff, v23
	v_cndmask_b32_sdwa v35, v23, v22, vcc dst_sel:WORD_1 dst_unused:UNUSED_PAD src0_sel:WORD_1 src1_sel:DWORD
	s_nop 0
	v_add_f32_e32 v35, v14, v35
	v_bfe_u32 v36, v35, 16, 1
	v_cmp_o_f32_e32 vcc, v35, v35
	v_add3_u32 v35, v35, v36, s16
	s_nop 0
	v_cndmask_b32_sdwa v35, v32, v35, vcc dst_sel:DWORD dst_unused:UNUSED_PAD src0_sel:DWORD src1_sel:WORD_1
	v_lshl_or_b32 v22, v35, 16, v22
	v_and_or_b32 v35, v23, s17, v35
	v_cndmask_b32_e64 v22, v22, v35, s[2:3]
	global_atomic_cmpswap v22, v[20:21], v[22:23], off sc0
	s_waitcnt vmcnt(0)
	v_cmp_eq_u32_e32 vcc, v23, v22
	s_or_b64 s[10:11], vcc, s[10:11]
	v_mov_b32_e32 v23, v22
	s_andn2_b64 exec, exec, s[10:11]
	s_cbranch_execnz .LBB11_13
	;; [unrolled: 43-line block ×3, first 2 shown]
; %bb.16:                               ;   in Loop: Header=BB11_8 Depth=3
	s_or_b64 exec, exec, s[10:11]
	s_add_i32 s27, s27, 1
	s_cmp_eq_u32 s27, 4
	s_cbranch_scc0 .LBB11_8
; %bb.17:                               ;   in Loop: Header=BB11_7 Depth=2
	s_add_i32 s26, s26, 1
	s_cmp_eq_u32 s26, s6
	s_cbranch_scc0 .LBB11_7
	s_branch .LBB11_4
.LBB11_18:
	s_mov_b64 s[2:3], 0
.LBB11_19:
	s_andn2_b64 vcc, exec, s[2:3]
	s_cbranch_vccnz .LBB11_25
; %bb.20:
	s_cmp_lt_i32 s4, 1
	s_cbranch_scc1 .LBB11_25
; %bb.21:
	s_load_dwordx8 s[12:19], s[0:1], 0x80
	s_load_dwordx2 s[2:3], s[0:1], 0x10
	s_load_dwordx8 s[20:27], s[0:1], 0x38
	s_load_dwordx2 s[8:9], s[0:1], 0x58
	v_ashrrev_i32_e32 v4, 31, v25
	s_waitcnt lgkmcnt(0)
	v_mul_lo_u32 v2, s17, v25
	v_mul_lo_u32 v3, s16, v4
	v_mad_u64_u32 v[0:1], s[0:1], s16, v25, 0
	v_ashrrev_i32_e32 v5, 31, v24
	v_add3_u32 v1, v1, v3, v2
	v_mul_lo_u32 v6, s19, v24
	v_mul_lo_u32 v7, s18, v5
	v_mad_u64_u32 v[2:3], s[0:1], s18, v24, 0
	v_lshl_add_u64 v[0:1], v[0:1], 1, s[8:9]
	v_add3_u32 v3, v3, v7, v6
	v_lshl_add_u64 v[0:1], v[2:3], 1, v[0:1]
	v_mul_lo_u32 v6, s25, v25
	v_mul_lo_u32 v4, s24, v4
	v_mad_u64_u32 v[2:3], s[0:1], s24, v25, 0
	s_cmp_gt_i32 s6, 0
	v_add3_u32 v3, v3, v4, v6
	v_mul_lo_u32 v6, s27, v24
	v_mul_lo_u32 v7, s26, v5
	v_mad_u64_u32 v[4:5], s[0:1], s26, v24, 0
	s_cselect_b64 s[28:29], -1, 0
	v_lshl_add_u64 v[2:3], v[2:3], 1, s[2:3]
	v_add3_u32 v5, v5, v7, v6
	v_lshl_add_u64 v[2:3], v[4:5], 1, v[2:3]
	v_cndmask_b32_e64 v4, 0, 1, s[28:29]
	s_mov_b32 s5, 0
	s_lshl_b64 s[2:3], s[20:21], 1
	s_lshl_b64 s[8:9], s[22:23], 1
	;; [unrolled: 1-line block ×4, first 2 shown]
	v_cmp_ne_u32_e64 s[0:1], 1, v4
	s_branch .LBB11_23
.LBB11_22:                              ;   in Loop: Header=BB11_23 Depth=1
	s_add_i32 s5, s5, 1
	v_lshl_add_u64 v[2:3], v[2:3], 0, s[2:3]
	s_cmp_eq_u32 s5, s4
	v_lshl_add_u64 v[0:1], v[0:1], 0, s[10:11]
	s_cbranch_scc1 .LBB11_25
.LBB11_23:                              ; =>This Loop Header: Depth=1
                                        ;     Child Loop BB11_24 Depth 2
	s_and_b64 vcc, exec, s[0:1]
	v_mov_b64_e32 v[4:5], v[0:1]
	v_mov_b64_e32 v[6:7], v[2:3]
	s_mov_b32 s7, s6
	s_cbranch_vccnz .LBB11_22
.LBB11_24:                              ;   Parent Loop BB11_23 Depth=1
                                        ; =>  This Inner Loop Header: Depth=2
	global_load_ushort v8, v[4:5], off
	s_add_i32 s7, s7, -1
	v_lshl_add_u64 v[4:5], v[4:5], 0, s[12:13]
	s_cmp_eq_u32 s7, 0
	s_waitcnt vmcnt(0)
	global_store_short v[6:7], v8, off
	v_lshl_add_u64 v[6:7], v[6:7], 0, s[8:9]
	s_cbranch_scc0 .LBB11_24
	s_branch .LBB11_22
.LBB11_25:
	s_endpgm
	.section	.rodata,"a",@progbits
	.p2align	6, 0x0
	.amdhsa_kernel _ZN2at6native12_GLOBAL__N_137upsample_bicubic2d_backward_out_frameIN3c108BFloat16EfEEviT0_S5_bN5torch10headeronly6detail27GenericPackedTensorAccessorINS8_14TensorAccessorINS3_8ArrayRefIlEET_Lm3ENS7_16DefaultPtrTraitsElEENS_6detail16IndexBoundsCheckILm4ElEESD_Lm4ESE_lEENS9_INSA_ISC_KSD_Lm3ESE_lEESI_SK_Lm4ESE_lEE
		.amdhsa_group_segment_fixed_size 0
		.amdhsa_private_segment_fixed_size 0
		.amdhsa_kernarg_size 416
		.amdhsa_user_sgpr_count 2
		.amdhsa_user_sgpr_dispatch_ptr 0
		.amdhsa_user_sgpr_queue_ptr 0
		.amdhsa_user_sgpr_kernarg_segment_ptr 1
		.amdhsa_user_sgpr_dispatch_id 0
		.amdhsa_user_sgpr_kernarg_preload_length 0
		.amdhsa_user_sgpr_kernarg_preload_offset 0
		.amdhsa_user_sgpr_private_segment_size 0
		.amdhsa_uses_dynamic_stack 0
		.amdhsa_enable_private_segment 0
		.amdhsa_system_sgpr_workgroup_id_x 1
		.amdhsa_system_sgpr_workgroup_id_y 0
		.amdhsa_system_sgpr_workgroup_id_z 0
		.amdhsa_system_sgpr_workgroup_info 0
		.amdhsa_system_vgpr_workitem_id 0
		.amdhsa_next_free_vgpr 37
		.amdhsa_next_free_sgpr 32
		.amdhsa_accum_offset 40
		.amdhsa_reserve_vcc 1
		.amdhsa_float_round_mode_32 0
		.amdhsa_float_round_mode_16_64 0
		.amdhsa_float_denorm_mode_32 3
		.amdhsa_float_denorm_mode_16_64 3
		.amdhsa_dx10_clamp 1
		.amdhsa_ieee_mode 1
		.amdhsa_fp16_overflow 0
		.amdhsa_tg_split 0
		.amdhsa_exception_fp_ieee_invalid_op 0
		.amdhsa_exception_fp_denorm_src 0
		.amdhsa_exception_fp_ieee_div_zero 0
		.amdhsa_exception_fp_ieee_overflow 0
		.amdhsa_exception_fp_ieee_underflow 0
		.amdhsa_exception_fp_ieee_inexact 0
		.amdhsa_exception_int_div_zero 0
	.end_amdhsa_kernel
	.section	.text._ZN2at6native12_GLOBAL__N_137upsample_bicubic2d_backward_out_frameIN3c108BFloat16EfEEviT0_S5_bN5torch10headeronly6detail27GenericPackedTensorAccessorINS8_14TensorAccessorINS3_8ArrayRefIlEET_Lm3ENS7_16DefaultPtrTraitsElEENS_6detail16IndexBoundsCheckILm4ElEESD_Lm4ESE_lEENS9_INSA_ISC_KSD_Lm3ESE_lEESI_SK_Lm4ESE_lEE,"axG",@progbits,_ZN2at6native12_GLOBAL__N_137upsample_bicubic2d_backward_out_frameIN3c108BFloat16EfEEviT0_S5_bN5torch10headeronly6detail27GenericPackedTensorAccessorINS8_14TensorAccessorINS3_8ArrayRefIlEET_Lm3ENS7_16DefaultPtrTraitsElEENS_6detail16IndexBoundsCheckILm4ElEESD_Lm4ESE_lEENS9_INSA_ISC_KSD_Lm3ESE_lEESI_SK_Lm4ESE_lEE,comdat
.Lfunc_end11:
	.size	_ZN2at6native12_GLOBAL__N_137upsample_bicubic2d_backward_out_frameIN3c108BFloat16EfEEviT0_S5_bN5torch10headeronly6detail27GenericPackedTensorAccessorINS8_14TensorAccessorINS3_8ArrayRefIlEET_Lm3ENS7_16DefaultPtrTraitsElEENS_6detail16IndexBoundsCheckILm4ElEESD_Lm4ESE_lEENS9_INSA_ISC_KSD_Lm3ESE_lEESI_SK_Lm4ESE_lEE, .Lfunc_end11-_ZN2at6native12_GLOBAL__N_137upsample_bicubic2d_backward_out_frameIN3c108BFloat16EfEEviT0_S5_bN5torch10headeronly6detail27GenericPackedTensorAccessorINS8_14TensorAccessorINS3_8ArrayRefIlEET_Lm3ENS7_16DefaultPtrTraitsElEENS_6detail16IndexBoundsCheckILm4ElEESD_Lm4ESE_lEENS9_INSA_ISC_KSD_Lm3ESE_lEESI_SK_Lm4ESE_lEE
                                        ; -- End function
	.set _ZN2at6native12_GLOBAL__N_137upsample_bicubic2d_backward_out_frameIN3c108BFloat16EfEEviT0_S5_bN5torch10headeronly6detail27GenericPackedTensorAccessorINS8_14TensorAccessorINS3_8ArrayRefIlEET_Lm3ENS7_16DefaultPtrTraitsElEENS_6detail16IndexBoundsCheckILm4ElEESD_Lm4ESE_lEENS9_INSA_ISC_KSD_Lm3ESE_lEESI_SK_Lm4ESE_lEE.num_vgpr, 37
	.set _ZN2at6native12_GLOBAL__N_137upsample_bicubic2d_backward_out_frameIN3c108BFloat16EfEEviT0_S5_bN5torch10headeronly6detail27GenericPackedTensorAccessorINS8_14TensorAccessorINS3_8ArrayRefIlEET_Lm3ENS7_16DefaultPtrTraitsElEENS_6detail16IndexBoundsCheckILm4ElEESD_Lm4ESE_lEENS9_INSA_ISC_KSD_Lm3ESE_lEESI_SK_Lm4ESE_lEE.num_agpr, 0
	.set _ZN2at6native12_GLOBAL__N_137upsample_bicubic2d_backward_out_frameIN3c108BFloat16EfEEviT0_S5_bN5torch10headeronly6detail27GenericPackedTensorAccessorINS8_14TensorAccessorINS3_8ArrayRefIlEET_Lm3ENS7_16DefaultPtrTraitsElEENS_6detail16IndexBoundsCheckILm4ElEESD_Lm4ESE_lEENS9_INSA_ISC_KSD_Lm3ESE_lEESI_SK_Lm4ESE_lEE.numbered_sgpr, 32
	.set _ZN2at6native12_GLOBAL__N_137upsample_bicubic2d_backward_out_frameIN3c108BFloat16EfEEviT0_S5_bN5torch10headeronly6detail27GenericPackedTensorAccessorINS8_14TensorAccessorINS3_8ArrayRefIlEET_Lm3ENS7_16DefaultPtrTraitsElEENS_6detail16IndexBoundsCheckILm4ElEESD_Lm4ESE_lEENS9_INSA_ISC_KSD_Lm3ESE_lEESI_SK_Lm4ESE_lEE.num_named_barrier, 0
	.set _ZN2at6native12_GLOBAL__N_137upsample_bicubic2d_backward_out_frameIN3c108BFloat16EfEEviT0_S5_bN5torch10headeronly6detail27GenericPackedTensorAccessorINS8_14TensorAccessorINS3_8ArrayRefIlEET_Lm3ENS7_16DefaultPtrTraitsElEENS_6detail16IndexBoundsCheckILm4ElEESD_Lm4ESE_lEENS9_INSA_ISC_KSD_Lm3ESE_lEESI_SK_Lm4ESE_lEE.private_seg_size, 0
	.set _ZN2at6native12_GLOBAL__N_137upsample_bicubic2d_backward_out_frameIN3c108BFloat16EfEEviT0_S5_bN5torch10headeronly6detail27GenericPackedTensorAccessorINS8_14TensorAccessorINS3_8ArrayRefIlEET_Lm3ENS7_16DefaultPtrTraitsElEENS_6detail16IndexBoundsCheckILm4ElEESD_Lm4ESE_lEENS9_INSA_ISC_KSD_Lm3ESE_lEESI_SK_Lm4ESE_lEE.uses_vcc, 1
	.set _ZN2at6native12_GLOBAL__N_137upsample_bicubic2d_backward_out_frameIN3c108BFloat16EfEEviT0_S5_bN5torch10headeronly6detail27GenericPackedTensorAccessorINS8_14TensorAccessorINS3_8ArrayRefIlEET_Lm3ENS7_16DefaultPtrTraitsElEENS_6detail16IndexBoundsCheckILm4ElEESD_Lm4ESE_lEENS9_INSA_ISC_KSD_Lm3ESE_lEESI_SK_Lm4ESE_lEE.uses_flat_scratch, 0
	.set _ZN2at6native12_GLOBAL__N_137upsample_bicubic2d_backward_out_frameIN3c108BFloat16EfEEviT0_S5_bN5torch10headeronly6detail27GenericPackedTensorAccessorINS8_14TensorAccessorINS3_8ArrayRefIlEET_Lm3ENS7_16DefaultPtrTraitsElEENS_6detail16IndexBoundsCheckILm4ElEESD_Lm4ESE_lEENS9_INSA_ISC_KSD_Lm3ESE_lEESI_SK_Lm4ESE_lEE.has_dyn_sized_stack, 0
	.set _ZN2at6native12_GLOBAL__N_137upsample_bicubic2d_backward_out_frameIN3c108BFloat16EfEEviT0_S5_bN5torch10headeronly6detail27GenericPackedTensorAccessorINS8_14TensorAccessorINS3_8ArrayRefIlEET_Lm3ENS7_16DefaultPtrTraitsElEENS_6detail16IndexBoundsCheckILm4ElEESD_Lm4ESE_lEENS9_INSA_ISC_KSD_Lm3ESE_lEESI_SK_Lm4ESE_lEE.has_recursion, 0
	.set _ZN2at6native12_GLOBAL__N_137upsample_bicubic2d_backward_out_frameIN3c108BFloat16EfEEviT0_S5_bN5torch10headeronly6detail27GenericPackedTensorAccessorINS8_14TensorAccessorINS3_8ArrayRefIlEET_Lm3ENS7_16DefaultPtrTraitsElEENS_6detail16IndexBoundsCheckILm4ElEESD_Lm4ESE_lEENS9_INSA_ISC_KSD_Lm3ESE_lEESI_SK_Lm4ESE_lEE.has_indirect_call, 0
	.section	.AMDGPU.csdata,"",@progbits
; Kernel info:
; codeLenInByte = 2404
; TotalNumSgprs: 38
; NumVgprs: 37
; NumAgprs: 0
; TotalNumVgprs: 37
; ScratchSize: 0
; MemoryBound: 0
; FloatMode: 240
; IeeeMode: 1
; LDSByteSize: 0 bytes/workgroup (compile time only)
; SGPRBlocks: 4
; VGPRBlocks: 4
; NumSGPRsForWavesPerEU: 38
; NumVGPRsForWavesPerEU: 37
; AccumOffset: 40
; Occupancy: 8
; WaveLimiterHint : 1
; COMPUTE_PGM_RSRC2:SCRATCH_EN: 0
; COMPUTE_PGM_RSRC2:USER_SGPR: 2
; COMPUTE_PGM_RSRC2:TRAP_HANDLER: 0
; COMPUTE_PGM_RSRC2:TGID_X_EN: 1
; COMPUTE_PGM_RSRC2:TGID_Y_EN: 0
; COMPUTE_PGM_RSRC2:TGID_Z_EN: 0
; COMPUTE_PGM_RSRC2:TIDIG_COMP_CNT: 0
; COMPUTE_PGM_RSRC3_GFX90A:ACCUM_OFFSET: 9
; COMPUTE_PGM_RSRC3_GFX90A:TG_SPLIT: 0
	.section	.AMDGPU.gpr_maximums,"",@progbits
	.set amdgpu.max_num_vgpr, 0
	.set amdgpu.max_num_agpr, 0
	.set amdgpu.max_num_sgpr, 0
	.section	.AMDGPU.csdata,"",@progbits
	.type	__hip_cuid_89c7736e499d9ec7,@object ; @__hip_cuid_89c7736e499d9ec7
	.section	.bss,"aw",@nobits
	.globl	__hip_cuid_89c7736e499d9ec7
__hip_cuid_89c7736e499d9ec7:
	.byte	0                               ; 0x0
	.size	__hip_cuid_89c7736e499d9ec7, 1

	.ident	"AMD clang version 22.0.0git (https://github.com/RadeonOpenCompute/llvm-project roc-7.2.4 26084 f58b06dce1f9c15707c5f808fd002e18c2accf7e)"
	.section	".note.GNU-stack","",@progbits
	.addrsig
	.addrsig_sym __hip_cuid_89c7736e499d9ec7
	.amdgpu_metadata
---
amdhsa.kernels:
  - .agpr_count:     0
    .args:
      - .offset:         0
        .size:           4
        .value_kind:     by_value
      - .offset:         8
        .size:           8
        .value_kind:     by_value
      - .offset:         16
        .size:           8
        .value_kind:     by_value
      - .offset:         24
        .size:           1
        .value_kind:     by_value
      - .offset:         32
        .size:           72
        .value_kind:     by_value
      - .offset:         104
        .size:           72
        .value_kind:     by_value
      - .offset:         176
        .size:           4
        .value_kind:     hidden_block_count_x
      - .offset:         180
        .size:           4
        .value_kind:     hidden_block_count_y
      - .offset:         184
        .size:           4
        .value_kind:     hidden_block_count_z
      - .offset:         188
        .size:           2
        .value_kind:     hidden_group_size_x
      - .offset:         190
        .size:           2
        .value_kind:     hidden_group_size_y
      - .offset:         192
        .size:           2
        .value_kind:     hidden_group_size_z
      - .offset:         194
        .size:           2
        .value_kind:     hidden_remainder_x
      - .offset:         196
        .size:           2
        .value_kind:     hidden_remainder_y
      - .offset:         198
        .size:           2
        .value_kind:     hidden_remainder_z
      - .offset:         216
        .size:           8
        .value_kind:     hidden_global_offset_x
      - .offset:         224
        .size:           8
        .value_kind:     hidden_global_offset_y
      - .offset:         232
        .size:           8
        .value_kind:     hidden_global_offset_z
      - .offset:         240
        .size:           2
        .value_kind:     hidden_grid_dims
    .group_segment_fixed_size: 0
    .kernarg_segment_align: 8
    .kernarg_segment_size: 432
    .language:       OpenCL C
    .language_version:
      - 2
      - 0
    .max_flat_workgroup_size: 1024
    .name:           _ZN2at6native12_GLOBAL__N_137upsample_bicubic2d_out_frame_parallelIddEEviT0_S3_bN5torch10headeronly6detail27GenericPackedTensorAccessorINS6_14TensorAccessorIN3c108ArrayRefIlEEKT_Lm3ENS5_16DefaultPtrTraitsElEENS_6detail16IndexBoundsCheckILm4ElEESD_Lm4ESE_lEENS7_INS8_ISB_SC_Lm3ESE_lEESI_SC_Lm4ESE_lEE
    .private_segment_fixed_size: 0
    .sgpr_count:     45
    .sgpr_spill_count: 0
    .symbol:         _ZN2at6native12_GLOBAL__N_137upsample_bicubic2d_out_frame_parallelIddEEviT0_S3_bN5torch10headeronly6detail27GenericPackedTensorAccessorINS6_14TensorAccessorIN3c108ArrayRefIlEEKT_Lm3ENS5_16DefaultPtrTraitsElEENS_6detail16IndexBoundsCheckILm4ElEESD_Lm4ESE_lEENS7_INS8_ISB_SC_Lm3ESE_lEESI_SC_Lm4ESE_lEE.kd
    .uniform_work_group_size: 1
    .uses_dynamic_stack: false
    .vgpr_count:     62
    .vgpr_spill_count: 0
    .wavefront_size: 64
  - .agpr_count:     0
    .args:
      - .offset:         0
        .size:           4
        .value_kind:     by_value
      - .offset:         8
        .size:           8
        .value_kind:     by_value
      - .offset:         16
        .size:           8
        .value_kind:     by_value
      - .offset:         24
        .size:           1
        .value_kind:     by_value
      - .offset:         32
        .size:           72
        .value_kind:     by_value
      - .offset:         104
        .size:           72
        .value_kind:     by_value
      - .offset:         176
        .size:           4
        .value_kind:     hidden_block_count_x
      - .offset:         180
        .size:           4
        .value_kind:     hidden_block_count_y
      - .offset:         184
        .size:           4
        .value_kind:     hidden_block_count_z
      - .offset:         188
        .size:           2
        .value_kind:     hidden_group_size_x
      - .offset:         190
        .size:           2
        .value_kind:     hidden_group_size_y
      - .offset:         192
        .size:           2
        .value_kind:     hidden_group_size_z
      - .offset:         194
        .size:           2
        .value_kind:     hidden_remainder_x
      - .offset:         196
        .size:           2
        .value_kind:     hidden_remainder_y
      - .offset:         198
        .size:           2
        .value_kind:     hidden_remainder_z
      - .offset:         216
        .size:           8
        .value_kind:     hidden_global_offset_x
      - .offset:         224
        .size:           8
        .value_kind:     hidden_global_offset_y
      - .offset:         232
        .size:           8
        .value_kind:     hidden_global_offset_z
      - .offset:         240
        .size:           2
        .value_kind:     hidden_grid_dims
    .group_segment_fixed_size: 0
    .kernarg_segment_align: 8
    .kernarg_segment_size: 432
    .language:       OpenCL C
    .language_version:
      - 2
      - 0
    .max_flat_workgroup_size: 1024
    .name:           _ZN2at6native12_GLOBAL__N_128upsample_bicubic2d_out_frameIddEEviT0_S3_bN5torch10headeronly6detail27GenericPackedTensorAccessorINS6_14TensorAccessorIN3c108ArrayRefIlEEKT_Lm3ENS5_16DefaultPtrTraitsElEENS_6detail16IndexBoundsCheckILm4ElEESD_Lm4ESE_lEENS7_INS8_ISB_SC_Lm3ESE_lEESI_SC_Lm4ESE_lEE
    .private_segment_fixed_size: 0
    .sgpr_count:     36
    .sgpr_spill_count: 0
    .symbol:         _ZN2at6native12_GLOBAL__N_128upsample_bicubic2d_out_frameIddEEviT0_S3_bN5torch10headeronly6detail27GenericPackedTensorAccessorINS6_14TensorAccessorIN3c108ArrayRefIlEEKT_Lm3ENS5_16DefaultPtrTraitsElEENS_6detail16IndexBoundsCheckILm4ElEESD_Lm4ESE_lEENS7_INS8_ISB_SC_Lm3ESE_lEESI_SC_Lm4ESE_lEE.kd
    .uniform_work_group_size: 1
    .uses_dynamic_stack: false
    .vgpr_count:     80
    .vgpr_spill_count: 0
    .wavefront_size: 64
  - .agpr_count:     0
    .args:
      - .offset:         0
        .size:           4
        .value_kind:     by_value
      - .offset:         4
        .size:           4
        .value_kind:     by_value
      - .offset:         8
        .size:           4
        .value_kind:     by_value
      - .offset:         12
        .size:           1
        .value_kind:     by_value
      - .offset:         16
        .size:           72
        .value_kind:     by_value
      - .offset:         88
        .size:           72
        .value_kind:     by_value
      - .offset:         160
        .size:           4
        .value_kind:     hidden_block_count_x
      - .offset:         164
        .size:           4
        .value_kind:     hidden_block_count_y
      - .offset:         168
        .size:           4
        .value_kind:     hidden_block_count_z
      - .offset:         172
        .size:           2
        .value_kind:     hidden_group_size_x
      - .offset:         174
        .size:           2
        .value_kind:     hidden_group_size_y
      - .offset:         176
        .size:           2
        .value_kind:     hidden_group_size_z
      - .offset:         178
        .size:           2
        .value_kind:     hidden_remainder_x
      - .offset:         180
        .size:           2
        .value_kind:     hidden_remainder_y
      - .offset:         182
        .size:           2
        .value_kind:     hidden_remainder_z
      - .offset:         200
        .size:           8
        .value_kind:     hidden_global_offset_x
      - .offset:         208
        .size:           8
        .value_kind:     hidden_global_offset_y
      - .offset:         216
        .size:           8
        .value_kind:     hidden_global_offset_z
      - .offset:         224
        .size:           2
        .value_kind:     hidden_grid_dims
    .group_segment_fixed_size: 0
    .kernarg_segment_align: 8
    .kernarg_segment_size: 416
    .language:       OpenCL C
    .language_version:
      - 2
      - 0
    .max_flat_workgroup_size: 1024
    .name:           _ZN2at6native12_GLOBAL__N_137upsample_bicubic2d_out_frame_parallelIffEEviT0_S3_bN5torch10headeronly6detail27GenericPackedTensorAccessorINS6_14TensorAccessorIN3c108ArrayRefIlEEKT_Lm3ENS5_16DefaultPtrTraitsElEENS_6detail16IndexBoundsCheckILm4ElEESD_Lm4ESE_lEENS7_INS8_ISB_SC_Lm3ESE_lEESI_SC_Lm4ESE_lEE
    .private_segment_fixed_size: 0
    .sgpr_count:     46
    .sgpr_spill_count: 0
    .symbol:         _ZN2at6native12_GLOBAL__N_137upsample_bicubic2d_out_frame_parallelIffEEviT0_S3_bN5torch10headeronly6detail27GenericPackedTensorAccessorINS6_14TensorAccessorIN3c108ArrayRefIlEEKT_Lm3ENS5_16DefaultPtrTraitsElEENS_6detail16IndexBoundsCheckILm4ElEESD_Lm4ESE_lEENS7_INS8_ISB_SC_Lm3ESE_lEESI_SC_Lm4ESE_lEE.kd
    .uniform_work_group_size: 1
    .uses_dynamic_stack: false
    .vgpr_count:     66
    .vgpr_spill_count: 0
    .wavefront_size: 64
  - .agpr_count:     0
    .args:
      - .offset:         0
        .size:           4
        .value_kind:     by_value
      - .offset:         4
        .size:           4
        .value_kind:     by_value
      - .offset:         8
        .size:           4
        .value_kind:     by_value
      - .offset:         12
        .size:           1
        .value_kind:     by_value
      - .offset:         16
        .size:           72
        .value_kind:     by_value
      - .offset:         88
        .size:           72
        .value_kind:     by_value
      - .offset:         160
        .size:           4
        .value_kind:     hidden_block_count_x
      - .offset:         164
        .size:           4
        .value_kind:     hidden_block_count_y
      - .offset:         168
        .size:           4
        .value_kind:     hidden_block_count_z
      - .offset:         172
        .size:           2
        .value_kind:     hidden_group_size_x
      - .offset:         174
        .size:           2
        .value_kind:     hidden_group_size_y
      - .offset:         176
        .size:           2
        .value_kind:     hidden_group_size_z
      - .offset:         178
        .size:           2
        .value_kind:     hidden_remainder_x
      - .offset:         180
        .size:           2
        .value_kind:     hidden_remainder_y
      - .offset:         182
        .size:           2
        .value_kind:     hidden_remainder_z
      - .offset:         200
        .size:           8
        .value_kind:     hidden_global_offset_x
      - .offset:         208
        .size:           8
        .value_kind:     hidden_global_offset_y
      - .offset:         216
        .size:           8
        .value_kind:     hidden_global_offset_z
      - .offset:         224
        .size:           2
        .value_kind:     hidden_grid_dims
    .group_segment_fixed_size: 0
    .kernarg_segment_align: 8
    .kernarg_segment_size: 416
    .language:       OpenCL C
    .language_version:
      - 2
      - 0
    .max_flat_workgroup_size: 1024
    .name:           _ZN2at6native12_GLOBAL__N_128upsample_bicubic2d_out_frameIffEEviT0_S3_bN5torch10headeronly6detail27GenericPackedTensorAccessorINS6_14TensorAccessorIN3c108ArrayRefIlEEKT_Lm3ENS5_16DefaultPtrTraitsElEENS_6detail16IndexBoundsCheckILm4ElEESD_Lm4ESE_lEENS7_INS8_ISB_SC_Lm3ESE_lEESI_SC_Lm4ESE_lEE
    .private_segment_fixed_size: 0
    .sgpr_count:     38
    .sgpr_spill_count: 0
    .symbol:         _ZN2at6native12_GLOBAL__N_128upsample_bicubic2d_out_frameIffEEviT0_S3_bN5torch10headeronly6detail27GenericPackedTensorAccessorINS6_14TensorAccessorIN3c108ArrayRefIlEEKT_Lm3ENS5_16DefaultPtrTraitsElEENS_6detail16IndexBoundsCheckILm4ElEESD_Lm4ESE_lEENS7_INS8_ISB_SC_Lm3ESE_lEESI_SC_Lm4ESE_lEE.kd
    .uniform_work_group_size: 1
    .uses_dynamic_stack: false
    .vgpr_count:     72
    .vgpr_spill_count: 0
    .wavefront_size: 64
  - .agpr_count:     0
    .args:
      - .offset:         0
        .size:           4
        .value_kind:     by_value
      - .offset:         4
        .size:           4
        .value_kind:     by_value
      - .offset:         8
        .size:           4
        .value_kind:     by_value
      - .offset:         12
        .size:           1
        .value_kind:     by_value
      - .offset:         16
        .size:           72
        .value_kind:     by_value
      - .offset:         88
        .size:           72
        .value_kind:     by_value
      - .offset:         160
        .size:           4
        .value_kind:     hidden_block_count_x
      - .offset:         164
        .size:           4
        .value_kind:     hidden_block_count_y
      - .offset:         168
        .size:           4
        .value_kind:     hidden_block_count_z
      - .offset:         172
        .size:           2
        .value_kind:     hidden_group_size_x
      - .offset:         174
        .size:           2
        .value_kind:     hidden_group_size_y
      - .offset:         176
        .size:           2
        .value_kind:     hidden_group_size_z
      - .offset:         178
        .size:           2
        .value_kind:     hidden_remainder_x
      - .offset:         180
        .size:           2
        .value_kind:     hidden_remainder_y
      - .offset:         182
        .size:           2
        .value_kind:     hidden_remainder_z
      - .offset:         200
        .size:           8
        .value_kind:     hidden_global_offset_x
      - .offset:         208
        .size:           8
        .value_kind:     hidden_global_offset_y
      - .offset:         216
        .size:           8
        .value_kind:     hidden_global_offset_z
      - .offset:         224
        .size:           2
        .value_kind:     hidden_grid_dims
    .group_segment_fixed_size: 0
    .kernarg_segment_align: 8
    .kernarg_segment_size: 416
    .language:       OpenCL C
    .language_version:
      - 2
      - 0
    .max_flat_workgroup_size: 1024
    .name:           _ZN2at6native12_GLOBAL__N_137upsample_bicubic2d_out_frame_parallelIN3c104HalfEfEEviT0_S5_bN5torch10headeronly6detail27GenericPackedTensorAccessorINS8_14TensorAccessorINS3_8ArrayRefIlEEKT_Lm3ENS7_16DefaultPtrTraitsElEENS_6detail16IndexBoundsCheckILm4ElEESE_Lm4ESF_lEENS9_INSA_ISC_SD_Lm3ESF_lEESJ_SD_Lm4ESF_lEE
    .private_segment_fixed_size: 0
    .sgpr_count:     46
    .sgpr_spill_count: 0
    .symbol:         _ZN2at6native12_GLOBAL__N_137upsample_bicubic2d_out_frame_parallelIN3c104HalfEfEEviT0_S5_bN5torch10headeronly6detail27GenericPackedTensorAccessorINS8_14TensorAccessorINS3_8ArrayRefIlEEKT_Lm3ENS7_16DefaultPtrTraitsElEENS_6detail16IndexBoundsCheckILm4ElEESE_Lm4ESF_lEENS9_INSA_ISC_SD_Lm3ESF_lEESJ_SD_Lm4ESF_lEE.kd
    .uniform_work_group_size: 1
    .uses_dynamic_stack: false
    .vgpr_count:     66
    .vgpr_spill_count: 0
    .wavefront_size: 64
  - .agpr_count:     0
    .args:
      - .offset:         0
        .size:           4
        .value_kind:     by_value
      - .offset:         4
        .size:           4
        .value_kind:     by_value
      - .offset:         8
        .size:           4
        .value_kind:     by_value
      - .offset:         12
        .size:           1
        .value_kind:     by_value
      - .offset:         16
        .size:           72
        .value_kind:     by_value
      - .offset:         88
        .size:           72
        .value_kind:     by_value
      - .offset:         160
        .size:           4
        .value_kind:     hidden_block_count_x
      - .offset:         164
        .size:           4
        .value_kind:     hidden_block_count_y
      - .offset:         168
        .size:           4
        .value_kind:     hidden_block_count_z
      - .offset:         172
        .size:           2
        .value_kind:     hidden_group_size_x
      - .offset:         174
        .size:           2
        .value_kind:     hidden_group_size_y
      - .offset:         176
        .size:           2
        .value_kind:     hidden_group_size_z
      - .offset:         178
        .size:           2
        .value_kind:     hidden_remainder_x
      - .offset:         180
        .size:           2
        .value_kind:     hidden_remainder_y
      - .offset:         182
        .size:           2
        .value_kind:     hidden_remainder_z
      - .offset:         200
        .size:           8
        .value_kind:     hidden_global_offset_x
      - .offset:         208
        .size:           8
        .value_kind:     hidden_global_offset_y
      - .offset:         216
        .size:           8
        .value_kind:     hidden_global_offset_z
      - .offset:         224
        .size:           2
        .value_kind:     hidden_grid_dims
    .group_segment_fixed_size: 0
    .kernarg_segment_align: 8
    .kernarg_segment_size: 416
    .language:       OpenCL C
    .language_version:
      - 2
      - 0
    .max_flat_workgroup_size: 1024
    .name:           _ZN2at6native12_GLOBAL__N_128upsample_bicubic2d_out_frameIN3c104HalfEfEEviT0_S5_bN5torch10headeronly6detail27GenericPackedTensorAccessorINS8_14TensorAccessorINS3_8ArrayRefIlEEKT_Lm3ENS7_16DefaultPtrTraitsElEENS_6detail16IndexBoundsCheckILm4ElEESE_Lm4ESF_lEENS9_INSA_ISC_SD_Lm3ESF_lEESJ_SD_Lm4ESF_lEE
    .private_segment_fixed_size: 0
    .sgpr_count:     38
    .sgpr_spill_count: 0
    .symbol:         _ZN2at6native12_GLOBAL__N_128upsample_bicubic2d_out_frameIN3c104HalfEfEEviT0_S5_bN5torch10headeronly6detail27GenericPackedTensorAccessorINS8_14TensorAccessorINS3_8ArrayRefIlEEKT_Lm3ENS7_16DefaultPtrTraitsElEENS_6detail16IndexBoundsCheckILm4ElEESE_Lm4ESF_lEENS9_INSA_ISC_SD_Lm3ESF_lEESJ_SD_Lm4ESF_lEE.kd
    .uniform_work_group_size: 1
    .uses_dynamic_stack: false
    .vgpr_count:     70
    .vgpr_spill_count: 0
    .wavefront_size: 64
  - .agpr_count:     0
    .args:
      - .offset:         0
        .size:           4
        .value_kind:     by_value
      - .offset:         4
        .size:           4
        .value_kind:     by_value
      - .offset:         8
        .size:           4
        .value_kind:     by_value
      - .offset:         12
        .size:           1
        .value_kind:     by_value
      - .offset:         16
        .size:           72
        .value_kind:     by_value
      - .offset:         88
        .size:           72
        .value_kind:     by_value
      - .offset:         160
        .size:           4
        .value_kind:     hidden_block_count_x
      - .offset:         164
        .size:           4
        .value_kind:     hidden_block_count_y
      - .offset:         168
        .size:           4
        .value_kind:     hidden_block_count_z
      - .offset:         172
        .size:           2
        .value_kind:     hidden_group_size_x
      - .offset:         174
        .size:           2
        .value_kind:     hidden_group_size_y
      - .offset:         176
        .size:           2
        .value_kind:     hidden_group_size_z
      - .offset:         178
        .size:           2
        .value_kind:     hidden_remainder_x
      - .offset:         180
        .size:           2
        .value_kind:     hidden_remainder_y
      - .offset:         182
        .size:           2
        .value_kind:     hidden_remainder_z
      - .offset:         200
        .size:           8
        .value_kind:     hidden_global_offset_x
      - .offset:         208
        .size:           8
        .value_kind:     hidden_global_offset_y
      - .offset:         216
        .size:           8
        .value_kind:     hidden_global_offset_z
      - .offset:         224
        .size:           2
        .value_kind:     hidden_grid_dims
    .group_segment_fixed_size: 0
    .kernarg_segment_align: 8
    .kernarg_segment_size: 416
    .language:       OpenCL C
    .language_version:
      - 2
      - 0
    .max_flat_workgroup_size: 1024
    .name:           _ZN2at6native12_GLOBAL__N_137upsample_bicubic2d_out_frame_parallelIN3c108BFloat16EfEEviT0_S5_bN5torch10headeronly6detail27GenericPackedTensorAccessorINS8_14TensorAccessorINS3_8ArrayRefIlEEKT_Lm3ENS7_16DefaultPtrTraitsElEENS_6detail16IndexBoundsCheckILm4ElEESE_Lm4ESF_lEENS9_INSA_ISC_SD_Lm3ESF_lEESJ_SD_Lm4ESF_lEE
    .private_segment_fixed_size: 0
    .sgpr_count:     47
    .sgpr_spill_count: 0
    .symbol:         _ZN2at6native12_GLOBAL__N_137upsample_bicubic2d_out_frame_parallelIN3c108BFloat16EfEEviT0_S5_bN5torch10headeronly6detail27GenericPackedTensorAccessorINS8_14TensorAccessorINS3_8ArrayRefIlEEKT_Lm3ENS7_16DefaultPtrTraitsElEENS_6detail16IndexBoundsCheckILm4ElEESE_Lm4ESF_lEENS9_INSA_ISC_SD_Lm3ESF_lEESJ_SD_Lm4ESF_lEE.kd
    .uniform_work_group_size: 1
    .uses_dynamic_stack: false
    .vgpr_count:     69
    .vgpr_spill_count: 0
    .wavefront_size: 64
  - .agpr_count:     0
    .args:
      - .offset:         0
        .size:           4
        .value_kind:     by_value
      - .offset:         4
        .size:           4
        .value_kind:     by_value
      - .offset:         8
        .size:           4
        .value_kind:     by_value
      - .offset:         12
        .size:           1
        .value_kind:     by_value
      - .offset:         16
        .size:           72
        .value_kind:     by_value
      - .offset:         88
        .size:           72
        .value_kind:     by_value
      - .offset:         160
        .size:           4
        .value_kind:     hidden_block_count_x
      - .offset:         164
        .size:           4
        .value_kind:     hidden_block_count_y
      - .offset:         168
        .size:           4
        .value_kind:     hidden_block_count_z
      - .offset:         172
        .size:           2
        .value_kind:     hidden_group_size_x
      - .offset:         174
        .size:           2
        .value_kind:     hidden_group_size_y
      - .offset:         176
        .size:           2
        .value_kind:     hidden_group_size_z
      - .offset:         178
        .size:           2
        .value_kind:     hidden_remainder_x
      - .offset:         180
        .size:           2
        .value_kind:     hidden_remainder_y
      - .offset:         182
        .size:           2
        .value_kind:     hidden_remainder_z
      - .offset:         200
        .size:           8
        .value_kind:     hidden_global_offset_x
      - .offset:         208
        .size:           8
        .value_kind:     hidden_global_offset_y
      - .offset:         216
        .size:           8
        .value_kind:     hidden_global_offset_z
      - .offset:         224
        .size:           2
        .value_kind:     hidden_grid_dims
    .group_segment_fixed_size: 0
    .kernarg_segment_align: 8
    .kernarg_segment_size: 416
    .language:       OpenCL C
    .language_version:
      - 2
      - 0
    .max_flat_workgroup_size: 1024
    .name:           _ZN2at6native12_GLOBAL__N_128upsample_bicubic2d_out_frameIN3c108BFloat16EfEEviT0_S5_bN5torch10headeronly6detail27GenericPackedTensorAccessorINS8_14TensorAccessorINS3_8ArrayRefIlEEKT_Lm3ENS7_16DefaultPtrTraitsElEENS_6detail16IndexBoundsCheckILm4ElEESE_Lm4ESF_lEENS9_INSA_ISC_SD_Lm3ESF_lEESJ_SD_Lm4ESF_lEE
    .private_segment_fixed_size: 0
    .sgpr_count:     38
    .sgpr_spill_count: 0
    .symbol:         _ZN2at6native12_GLOBAL__N_128upsample_bicubic2d_out_frameIN3c108BFloat16EfEEviT0_S5_bN5torch10headeronly6detail27GenericPackedTensorAccessorINS8_14TensorAccessorINS3_8ArrayRefIlEEKT_Lm3ENS7_16DefaultPtrTraitsElEENS_6detail16IndexBoundsCheckILm4ElEESE_Lm4ESF_lEENS9_INSA_ISC_SD_Lm3ESF_lEESJ_SD_Lm4ESF_lEE.kd
    .uniform_work_group_size: 1
    .uses_dynamic_stack: false
    .vgpr_count:     61
    .vgpr_spill_count: 0
    .wavefront_size: 64
  - .agpr_count:     0
    .args:
      - .offset:         0
        .size:           4
        .value_kind:     by_value
      - .offset:         8
        .size:           8
        .value_kind:     by_value
      - .offset:         16
        .size:           8
        .value_kind:     by_value
      - .offset:         24
        .size:           1
        .value_kind:     by_value
      - .offset:         32
        .size:           72
        .value_kind:     by_value
      - .offset:         104
        .size:           72
        .value_kind:     by_value
      - .offset:         176
        .size:           4
        .value_kind:     hidden_block_count_x
      - .offset:         180
        .size:           4
        .value_kind:     hidden_block_count_y
      - .offset:         184
        .size:           4
        .value_kind:     hidden_block_count_z
      - .offset:         188
        .size:           2
        .value_kind:     hidden_group_size_x
      - .offset:         190
        .size:           2
        .value_kind:     hidden_group_size_y
      - .offset:         192
        .size:           2
        .value_kind:     hidden_group_size_z
      - .offset:         194
        .size:           2
        .value_kind:     hidden_remainder_x
      - .offset:         196
        .size:           2
        .value_kind:     hidden_remainder_y
      - .offset:         198
        .size:           2
        .value_kind:     hidden_remainder_z
      - .offset:         216
        .size:           8
        .value_kind:     hidden_global_offset_x
      - .offset:         224
        .size:           8
        .value_kind:     hidden_global_offset_y
      - .offset:         232
        .size:           8
        .value_kind:     hidden_global_offset_z
      - .offset:         240
        .size:           2
        .value_kind:     hidden_grid_dims
    .group_segment_fixed_size: 0
    .kernarg_segment_align: 8
    .kernarg_segment_size: 432
    .language:       OpenCL C
    .language_version:
      - 2
      - 0
    .max_flat_workgroup_size: 1024
    .name:           _ZN2at6native12_GLOBAL__N_137upsample_bicubic2d_backward_out_frameIddEEviT0_S3_bN5torch10headeronly6detail27GenericPackedTensorAccessorINS6_14TensorAccessorIN3c108ArrayRefIlEET_Lm3ENS5_16DefaultPtrTraitsElEENS_6detail16IndexBoundsCheckILm4ElEESC_Lm4ESD_lEENS7_INS8_ISB_KSC_Lm3ESD_lEESH_SJ_Lm4ESD_lEE
    .private_segment_fixed_size: 0
    .sgpr_count:     38
    .sgpr_spill_count: 0
    .symbol:         _ZN2at6native12_GLOBAL__N_137upsample_bicubic2d_backward_out_frameIddEEviT0_S3_bN5torch10headeronly6detail27GenericPackedTensorAccessorINS6_14TensorAccessorIN3c108ArrayRefIlEET_Lm3ENS5_16DefaultPtrTraitsElEENS_6detail16IndexBoundsCheckILm4ElEESC_Lm4ESD_lEENS7_INS8_ISB_KSC_Lm3ESD_lEESH_SJ_Lm4ESD_lEE.kd
    .uniform_work_group_size: 1
    .uses_dynamic_stack: false
    .vgpr_count:     62
    .vgpr_spill_count: 0
    .wavefront_size: 64
  - .agpr_count:     0
    .args:
      - .offset:         0
        .size:           4
        .value_kind:     by_value
      - .offset:         4
        .size:           4
        .value_kind:     by_value
      - .offset:         8
        .size:           4
        .value_kind:     by_value
      - .offset:         12
        .size:           1
        .value_kind:     by_value
      - .offset:         16
        .size:           72
        .value_kind:     by_value
      - .offset:         88
        .size:           72
        .value_kind:     by_value
      - .offset:         160
        .size:           4
        .value_kind:     hidden_block_count_x
      - .offset:         164
        .size:           4
        .value_kind:     hidden_block_count_y
      - .offset:         168
        .size:           4
        .value_kind:     hidden_block_count_z
      - .offset:         172
        .size:           2
        .value_kind:     hidden_group_size_x
      - .offset:         174
        .size:           2
        .value_kind:     hidden_group_size_y
      - .offset:         176
        .size:           2
        .value_kind:     hidden_group_size_z
      - .offset:         178
        .size:           2
        .value_kind:     hidden_remainder_x
      - .offset:         180
        .size:           2
        .value_kind:     hidden_remainder_y
      - .offset:         182
        .size:           2
        .value_kind:     hidden_remainder_z
      - .offset:         200
        .size:           8
        .value_kind:     hidden_global_offset_x
      - .offset:         208
        .size:           8
        .value_kind:     hidden_global_offset_y
      - .offset:         216
        .size:           8
        .value_kind:     hidden_global_offset_z
      - .offset:         224
        .size:           2
        .value_kind:     hidden_grid_dims
    .group_segment_fixed_size: 0
    .kernarg_segment_align: 8
    .kernarg_segment_size: 416
    .language:       OpenCL C
    .language_version:
      - 2
      - 0
    .max_flat_workgroup_size: 1024
    .name:           _ZN2at6native12_GLOBAL__N_137upsample_bicubic2d_backward_out_frameIffEEviT0_S3_bN5torch10headeronly6detail27GenericPackedTensorAccessorINS6_14TensorAccessorIN3c108ArrayRefIlEET_Lm3ENS5_16DefaultPtrTraitsElEENS_6detail16IndexBoundsCheckILm4ElEESC_Lm4ESD_lEENS7_INS8_ISB_KSC_Lm3ESD_lEESH_SJ_Lm4ESD_lEE
    .private_segment_fixed_size: 0
    .sgpr_count:     38
    .sgpr_spill_count: 0
    .symbol:         _ZN2at6native12_GLOBAL__N_137upsample_bicubic2d_backward_out_frameIffEEviT0_S3_bN5torch10headeronly6detail27GenericPackedTensorAccessorINS6_14TensorAccessorIN3c108ArrayRefIlEET_Lm3ENS5_16DefaultPtrTraitsElEENS_6detail16IndexBoundsCheckILm4ElEESC_Lm4ESD_lEENS7_INS8_ISB_KSC_Lm3ESD_lEESH_SJ_Lm4ESD_lEE.kd
    .uniform_work_group_size: 1
    .uses_dynamic_stack: false
    .vgpr_count:     57
    .vgpr_spill_count: 0
    .wavefront_size: 64
  - .agpr_count:     0
    .args:
      - .offset:         0
        .size:           4
        .value_kind:     by_value
      - .offset:         4
        .size:           4
        .value_kind:     by_value
      - .offset:         8
        .size:           4
        .value_kind:     by_value
      - .offset:         12
        .size:           1
        .value_kind:     by_value
      - .offset:         16
        .size:           72
        .value_kind:     by_value
      - .offset:         88
        .size:           72
        .value_kind:     by_value
      - .offset:         160
        .size:           4
        .value_kind:     hidden_block_count_x
      - .offset:         164
        .size:           4
        .value_kind:     hidden_block_count_y
      - .offset:         168
        .size:           4
        .value_kind:     hidden_block_count_z
      - .offset:         172
        .size:           2
        .value_kind:     hidden_group_size_x
      - .offset:         174
        .size:           2
        .value_kind:     hidden_group_size_y
      - .offset:         176
        .size:           2
        .value_kind:     hidden_group_size_z
      - .offset:         178
        .size:           2
        .value_kind:     hidden_remainder_x
      - .offset:         180
        .size:           2
        .value_kind:     hidden_remainder_y
      - .offset:         182
        .size:           2
        .value_kind:     hidden_remainder_z
      - .offset:         200
        .size:           8
        .value_kind:     hidden_global_offset_x
      - .offset:         208
        .size:           8
        .value_kind:     hidden_global_offset_y
      - .offset:         216
        .size:           8
        .value_kind:     hidden_global_offset_z
      - .offset:         224
        .size:           2
        .value_kind:     hidden_grid_dims
    .group_segment_fixed_size: 0
    .kernarg_segment_align: 8
    .kernarg_segment_size: 416
    .language:       OpenCL C
    .language_version:
      - 2
      - 0
    .max_flat_workgroup_size: 1024
    .name:           _ZN2at6native12_GLOBAL__N_137upsample_bicubic2d_backward_out_frameIN3c104HalfEfEEviT0_S5_bN5torch10headeronly6detail27GenericPackedTensorAccessorINS8_14TensorAccessorINS3_8ArrayRefIlEET_Lm3ENS7_16DefaultPtrTraitsElEENS_6detail16IndexBoundsCheckILm4ElEESD_Lm4ESE_lEENS9_INSA_ISC_KSD_Lm3ESE_lEESI_SK_Lm4ESE_lEE
    .private_segment_fixed_size: 0
    .sgpr_count:     42
    .sgpr_spill_count: 0
    .symbol:         _ZN2at6native12_GLOBAL__N_137upsample_bicubic2d_backward_out_frameIN3c104HalfEfEEviT0_S5_bN5torch10headeronly6detail27GenericPackedTensorAccessorINS8_14TensorAccessorINS3_8ArrayRefIlEET_Lm3ENS7_16DefaultPtrTraitsElEENS_6detail16IndexBoundsCheckILm4ElEESD_Lm4ESE_lEENS9_INSA_ISC_KSD_Lm3ESE_lEESI_SK_Lm4ESE_lEE.kd
    .uniform_work_group_size: 1
    .uses_dynamic_stack: false
    .vgpr_count:     34
    .vgpr_spill_count: 0
    .wavefront_size: 64
  - .agpr_count:     0
    .args:
      - .offset:         0
        .size:           4
        .value_kind:     by_value
      - .offset:         4
        .size:           4
        .value_kind:     by_value
      - .offset:         8
        .size:           4
        .value_kind:     by_value
      - .offset:         12
        .size:           1
        .value_kind:     by_value
      - .offset:         16
        .size:           72
        .value_kind:     by_value
      - .offset:         88
        .size:           72
        .value_kind:     by_value
      - .offset:         160
        .size:           4
        .value_kind:     hidden_block_count_x
      - .offset:         164
        .size:           4
        .value_kind:     hidden_block_count_y
      - .offset:         168
        .size:           4
        .value_kind:     hidden_block_count_z
      - .offset:         172
        .size:           2
        .value_kind:     hidden_group_size_x
      - .offset:         174
        .size:           2
        .value_kind:     hidden_group_size_y
      - .offset:         176
        .size:           2
        .value_kind:     hidden_group_size_z
      - .offset:         178
        .size:           2
        .value_kind:     hidden_remainder_x
      - .offset:         180
        .size:           2
        .value_kind:     hidden_remainder_y
      - .offset:         182
        .size:           2
        .value_kind:     hidden_remainder_z
      - .offset:         200
        .size:           8
        .value_kind:     hidden_global_offset_x
      - .offset:         208
        .size:           8
        .value_kind:     hidden_global_offset_y
      - .offset:         216
        .size:           8
        .value_kind:     hidden_global_offset_z
      - .offset:         224
        .size:           2
        .value_kind:     hidden_grid_dims
    .group_segment_fixed_size: 0
    .kernarg_segment_align: 8
    .kernarg_segment_size: 416
    .language:       OpenCL C
    .language_version:
      - 2
      - 0
    .max_flat_workgroup_size: 1024
    .name:           _ZN2at6native12_GLOBAL__N_137upsample_bicubic2d_backward_out_frameIN3c108BFloat16EfEEviT0_S5_bN5torch10headeronly6detail27GenericPackedTensorAccessorINS8_14TensorAccessorINS3_8ArrayRefIlEET_Lm3ENS7_16DefaultPtrTraitsElEENS_6detail16IndexBoundsCheckILm4ElEESD_Lm4ESE_lEENS9_INSA_ISC_KSD_Lm3ESE_lEESI_SK_Lm4ESE_lEE
    .private_segment_fixed_size: 0
    .sgpr_count:     38
    .sgpr_spill_count: 0
    .symbol:         _ZN2at6native12_GLOBAL__N_137upsample_bicubic2d_backward_out_frameIN3c108BFloat16EfEEviT0_S5_bN5torch10headeronly6detail27GenericPackedTensorAccessorINS8_14TensorAccessorINS3_8ArrayRefIlEET_Lm3ENS7_16DefaultPtrTraitsElEENS_6detail16IndexBoundsCheckILm4ElEESD_Lm4ESE_lEENS9_INSA_ISC_KSD_Lm3ESE_lEESI_SK_Lm4ESE_lEE.kd
    .uniform_work_group_size: 1
    .uses_dynamic_stack: false
    .vgpr_count:     37
    .vgpr_spill_count: 0
    .wavefront_size: 64
amdhsa.target:   amdgcn-amd-amdhsa--gfx950
amdhsa.version:
  - 1
  - 2
...

	.end_amdgpu_metadata
